;; amdgpu-corpus repo=ROCm/rocFFT kind=compiled arch=gfx950 opt=O3
	.text
	.amdgcn_target "amdgcn-amd-amdhsa--gfx950"
	.amdhsa_code_object_version 6
	.protected	fft_rtc_back_len2430_factors_10_3_3_3_3_3_wgs_81_tpt_81_halfLds_dp_op_CI_CI_unitstride_sbrr_C2R_dirReg ; -- Begin function fft_rtc_back_len2430_factors_10_3_3_3_3_3_wgs_81_tpt_81_halfLds_dp_op_CI_CI_unitstride_sbrr_C2R_dirReg
	.globl	fft_rtc_back_len2430_factors_10_3_3_3_3_3_wgs_81_tpt_81_halfLds_dp_op_CI_CI_unitstride_sbrr_C2R_dirReg
	.p2align	8
	.type	fft_rtc_back_len2430_factors_10_3_3_3_3_3_wgs_81_tpt_81_halfLds_dp_op_CI_CI_unitstride_sbrr_C2R_dirReg,@function
fft_rtc_back_len2430_factors_10_3_3_3_3_3_wgs_81_tpt_81_halfLds_dp_op_CI_CI_unitstride_sbrr_C2R_dirReg: ; @fft_rtc_back_len2430_factors_10_3_3_3_3_3_wgs_81_tpt_81_halfLds_dp_op_CI_CI_unitstride_sbrr_C2R_dirReg
; %bb.0:
	s_load_dwordx4 s[4:7], s[0:1], 0x58
	s_load_dwordx4 s[8:11], s[0:1], 0x0
	;; [unrolled: 1-line block ×3, first 2 shown]
	v_mul_u32_u24_e32 v1, 0x32a, v0
	v_add_u32_sdwa v6, s2, v1 dst_sel:DWORD dst_unused:UNUSED_PAD src0_sel:DWORD src1_sel:WORD_1
	v_mov_b32_e32 v4, 0
	s_waitcnt lgkmcnt(0)
	v_cmp_lt_u64_e64 s[2:3], s[10:11], 2
	v_mov_b32_e32 v7, v4
	s_and_b64 vcc, exec, s[2:3]
	v_mov_b64_e32 v[2:3], 0
	s_cbranch_vccnz .LBB0_8
; %bb.1:
	s_load_dwordx2 s[2:3], s[0:1], 0x10
	s_add_u32 s16, s14, 8
	s_addc_u32 s17, s15, 0
	s_add_u32 s18, s12, 8
	s_addc_u32 s19, s13, 0
	s_waitcnt lgkmcnt(0)
	s_add_u32 s20, s2, 8
	v_mov_b64_e32 v[2:3], 0
	s_addc_u32 s21, s3, 0
	s_mov_b64 s[22:23], 1
	v_mov_b64_e32 v[120:121], v[2:3]
.LBB0_2:                                ; =>This Inner Loop Header: Depth=1
	s_load_dwordx2 s[24:25], s[20:21], 0x0
                                        ; implicit-def: $vgpr124_vgpr125
	s_waitcnt lgkmcnt(0)
	v_or_b32_e32 v5, s25, v7
	v_cmp_ne_u64_e32 vcc, 0, v[4:5]
	s_and_saveexec_b64 s[2:3], vcc
	s_xor_b64 s[26:27], exec, s[2:3]
	s_cbranch_execz .LBB0_4
; %bb.3:                                ;   in Loop: Header=BB0_2 Depth=1
	v_cvt_f32_u32_e32 v1, s24
	v_cvt_f32_u32_e32 v5, s25
	s_sub_u32 s2, 0, s24
	s_subb_u32 s3, 0, s25
	v_fmac_f32_e32 v1, 0x4f800000, v5
	v_rcp_f32_e32 v1, v1
	s_nop 0
	v_mul_f32_e32 v1, 0x5f7ffffc, v1
	v_mul_f32_e32 v5, 0x2f800000, v1
	v_trunc_f32_e32 v5, v5
	v_fmac_f32_e32 v1, 0xcf800000, v5
	v_cvt_u32_f32_e32 v5, v5
	v_cvt_u32_f32_e32 v1, v1
	v_mul_lo_u32 v8, s2, v5
	v_mul_hi_u32 v10, s2, v1
	v_mul_lo_u32 v9, s3, v1
	v_add_u32_e32 v10, v10, v8
	v_mul_lo_u32 v12, s2, v1
	v_add_u32_e32 v13, v10, v9
	v_mul_hi_u32 v8, v1, v12
	v_mul_hi_u32 v11, v1, v13
	v_mul_lo_u32 v10, v1, v13
	v_mov_b32_e32 v9, v4
	v_lshl_add_u64 v[8:9], v[8:9], 0, v[10:11]
	v_mul_hi_u32 v11, v5, v12
	v_mul_lo_u32 v12, v5, v12
	v_add_co_u32_e32 v8, vcc, v8, v12
	v_mul_hi_u32 v10, v5, v13
	s_nop 0
	v_addc_co_u32_e32 v8, vcc, v9, v11, vcc
	v_mov_b32_e32 v9, v4
	s_nop 0
	v_addc_co_u32_e32 v11, vcc, 0, v10, vcc
	v_mul_lo_u32 v10, v5, v13
	v_lshl_add_u64 v[8:9], v[8:9], 0, v[10:11]
	v_add_co_u32_e32 v1, vcc, v1, v8
	v_mul_lo_u32 v10, s2, v1
	s_nop 0
	v_addc_co_u32_e32 v5, vcc, v5, v9, vcc
	v_mul_lo_u32 v8, s2, v5
	v_mul_hi_u32 v9, s2, v1
	v_add_u32_e32 v8, v9, v8
	v_mul_lo_u32 v9, s3, v1
	v_add_u32_e32 v12, v8, v9
	v_mul_hi_u32 v14, v5, v10
	v_mul_lo_u32 v15, v5, v10
	v_mul_hi_u32 v9, v1, v12
	v_mul_lo_u32 v8, v1, v12
	v_mul_hi_u32 v10, v1, v10
	v_mov_b32_e32 v11, v4
	v_lshl_add_u64 v[8:9], v[10:11], 0, v[8:9]
	v_add_co_u32_e32 v8, vcc, v8, v15
	v_mul_hi_u32 v13, v5, v12
	s_nop 0
	v_addc_co_u32_e32 v8, vcc, v9, v14, vcc
	v_mul_lo_u32 v10, v5, v12
	s_nop 0
	v_addc_co_u32_e32 v11, vcc, 0, v13, vcc
	v_mov_b32_e32 v9, v4
	v_lshl_add_u64 v[8:9], v[8:9], 0, v[10:11]
	v_add_co_u32_e32 v1, vcc, v1, v8
	v_mul_hi_u32 v10, v6, v1
	s_nop 0
	v_addc_co_u32_e32 v5, vcc, v5, v9, vcc
	v_mad_u64_u32 v[8:9], s[2:3], v6, v5, 0
	v_mov_b32_e32 v11, v4
	v_lshl_add_u64 v[8:9], v[10:11], 0, v[8:9]
	v_mad_u64_u32 v[12:13], s[2:3], v7, v1, 0
	v_add_co_u32_e32 v1, vcc, v8, v12
	v_mad_u64_u32 v[10:11], s[2:3], v7, v5, 0
	s_nop 0
	v_addc_co_u32_e32 v8, vcc, v9, v13, vcc
	v_mov_b32_e32 v9, v4
	s_nop 0
	v_addc_co_u32_e32 v11, vcc, 0, v11, vcc
	v_lshl_add_u64 v[8:9], v[8:9], 0, v[10:11]
	v_mul_lo_u32 v1, s25, v8
	v_mul_lo_u32 v5, s24, v9
	v_mad_u64_u32 v[10:11], s[2:3], s24, v8, 0
	v_add3_u32 v1, v11, v5, v1
	v_sub_u32_e32 v5, v7, v1
	v_mov_b32_e32 v11, s25
	v_sub_co_u32_e32 v14, vcc, v6, v10
	v_lshl_add_u64 v[12:13], v[8:9], 0, 1
	s_nop 0
	v_subb_co_u32_e64 v5, s[2:3], v5, v11, vcc
	v_subrev_co_u32_e64 v10, s[2:3], s24, v14
	v_subb_co_u32_e32 v1, vcc, v7, v1, vcc
	s_nop 0
	v_subbrev_co_u32_e64 v5, s[2:3], 0, v5, s[2:3]
	v_cmp_le_u32_e64 s[2:3], s25, v5
	v_cmp_le_u32_e32 vcc, s25, v1
	s_nop 0
	v_cndmask_b32_e64 v11, 0, -1, s[2:3]
	v_cmp_le_u32_e64 s[2:3], s24, v10
	s_nop 1
	v_cndmask_b32_e64 v10, 0, -1, s[2:3]
	v_cmp_eq_u32_e64 s[2:3], s25, v5
	s_nop 1
	v_cndmask_b32_e64 v5, v11, v10, s[2:3]
	v_lshl_add_u64 v[10:11], v[8:9], 0, 2
	v_cmp_ne_u32_e64 s[2:3], 0, v5
	s_nop 1
	v_cndmask_b32_e64 v5, v13, v11, s[2:3]
	v_cndmask_b32_e64 v11, 0, -1, vcc
	v_cmp_le_u32_e32 vcc, s24, v14
	s_nop 1
	v_cndmask_b32_e64 v13, 0, -1, vcc
	v_cmp_eq_u32_e32 vcc, s25, v1
	s_nop 1
	v_cndmask_b32_e32 v1, v11, v13, vcc
	v_cmp_ne_u32_e32 vcc, 0, v1
	v_cndmask_b32_e64 v1, v12, v10, s[2:3]
	s_nop 0
	v_cndmask_b32_e32 v125, v9, v5, vcc
	v_cndmask_b32_e32 v124, v8, v1, vcc
.LBB0_4:                                ;   in Loop: Header=BB0_2 Depth=1
	s_andn2_saveexec_b64 s[2:3], s[26:27]
	s_cbranch_execz .LBB0_6
; %bb.5:                                ;   in Loop: Header=BB0_2 Depth=1
	v_cvt_f32_u32_e32 v1, s24
	s_sub_i32 s26, 0, s24
	v_mov_b32_e32 v125, v4
	v_rcp_iflag_f32_e32 v1, v1
	s_nop 0
	v_mul_f32_e32 v1, 0x4f7ffffe, v1
	v_cvt_u32_f32_e32 v1, v1
	v_mul_lo_u32 v5, s26, v1
	v_mul_hi_u32 v5, v1, v5
	v_add_u32_e32 v1, v1, v5
	v_mul_hi_u32 v1, v6, v1
	v_mul_lo_u32 v5, v1, s24
	v_sub_u32_e32 v5, v6, v5
	v_add_u32_e32 v8, 1, v1
	v_subrev_u32_e32 v9, s24, v5
	v_cmp_le_u32_e32 vcc, s24, v5
	s_nop 1
	v_cndmask_b32_e32 v5, v5, v9, vcc
	v_cndmask_b32_e32 v1, v1, v8, vcc
	v_add_u32_e32 v8, 1, v1
	v_cmp_le_u32_e32 vcc, s24, v5
	s_nop 1
	v_cndmask_b32_e32 v124, v1, v8, vcc
.LBB0_6:                                ;   in Loop: Header=BB0_2 Depth=1
	s_or_b64 exec, exec, s[2:3]
	v_mad_u64_u32 v[8:9], s[2:3], v124, s24, 0
	s_load_dwordx2 s[2:3], s[18:19], 0x0
	v_mul_lo_u32 v1, v125, s24
	v_mul_lo_u32 v5, v124, s25
	s_load_dwordx2 s[24:25], s[16:17], 0x0
	s_add_u32 s22, s22, 1
	v_add3_u32 v1, v9, v5, v1
	v_sub_co_u32_e32 v5, vcc, v6, v8
	s_addc_u32 s23, s23, 0
	s_nop 0
	v_subb_co_u32_e32 v1, vcc, v7, v1, vcc
	s_add_u32 s16, s16, 8
	s_waitcnt lgkmcnt(0)
	v_mul_lo_u32 v6, s2, v1
	v_mul_lo_u32 v7, s3, v5
	v_mad_u64_u32 v[2:3], s[2:3], s2, v5, v[2:3]
	s_addc_u32 s17, s17, 0
	v_add3_u32 v3, v7, v3, v6
	v_mul_lo_u32 v1, s24, v1
	v_mul_lo_u32 v6, s25, v5
	v_mad_u64_u32 v[120:121], s[2:3], s24, v5, v[120:121]
	s_add_u32 s18, s18, 8
	v_add3_u32 v121, v6, v121, v1
	s_addc_u32 s19, s19, 0
	v_mov_b64_e32 v[6:7], s[10:11]
	s_add_u32 s20, s20, 8
	v_cmp_ge_u64_e32 vcc, s[22:23], v[6:7]
	s_addc_u32 s21, s21, 0
	s_cbranch_vccnz .LBB0_9
; %bb.7:                                ;   in Loop: Header=BB0_2 Depth=1
	v_mov_b64_e32 v[6:7], v[124:125]
	s_branch .LBB0_2
.LBB0_8:
	v_mov_b64_e32 v[120:121], v[2:3]
	v_mov_b64_e32 v[124:125], v[6:7]
.LBB0_9:
	s_load_dwordx2 s[18:19], s[0:1], 0x28
	s_lshl_b64 s[16:17], s[10:11], 3
	s_add_u32 s2, s14, s16
	s_addc_u32 s3, s15, s17
                                        ; implicit-def: $vgpr122
	s_waitcnt lgkmcnt(0)
	v_cmp_gt_u64_e64 s[0:1], s[18:19], v[124:125]
	v_cmp_le_u64_e32 vcc, s[18:19], v[124:125]
	s_and_saveexec_b64 s[10:11], vcc
	s_xor_b64 s[10:11], exec, s[10:11]
; %bb.10:
	s_mov_b32 s14, 0x3291620
	v_mul_hi_u32 v1, v0, s14
	v_mul_u32_u24_e32 v1, 0x51, v1
	v_sub_u32_e32 v122, v0, v1
                                        ; implicit-def: $vgpr0
                                        ; implicit-def: $vgpr2_vgpr3
; %bb.11:
	s_or_saveexec_b64 s[10:11], s[10:11]
	s_load_dwordx2 s[2:3], s[2:3], 0x0
	s_xor_b64 exec, exec, s[10:11]
	s_cbranch_execz .LBB0_15
; %bb.12:
	s_add_u32 s12, s12, s16
	s_addc_u32 s13, s13, s17
	s_load_dwordx2 s[12:13], s[12:13], 0x0
	s_mov_b32 s14, 0x3291620
	s_waitcnt lgkmcnt(0)
	v_mul_lo_u32 v1, s13, v124
	v_mul_lo_u32 v6, s12, v125
	v_mad_u64_u32 v[4:5], s[12:13], s12, v124, 0
	v_add3_u32 v5, v5, v6, v1
	v_mul_hi_u32 v1, v0, s14
	v_mul_u32_u24_e32 v1, 0x51, v1
	v_sub_u32_e32 v122, v0, v1
	v_lshl_add_u64 v[0:1], v[4:5], 4, s[4:5]
	v_lshl_add_u64 v[2:3], v[2:3], 4, v[0:1]
	v_lshlrev_b32_e32 v0, 4, v122
	v_mov_b32_e32 v1, 0
	v_lshl_add_u64 v[116:117], v[2:3], 0, v[0:1]
	s_movk_i32 s4, 0x1000
	v_add_co_u32_e32 v36, vcc, s4, v116
	s_movk_i32 s4, 0x2000
	s_nop 0
	v_addc_co_u32_e32 v37, vcc, 0, v117, vcc
	v_add_co_u32_e32 v76, vcc, s4, v116
	s_movk_i32 s5, 0x3000
	s_nop 0
	v_addc_co_u32_e32 v77, vcc, 0, v117, vcc
	;; [unrolled: 4-line block ×6, first 2 shown]
	v_add_co_u32_e32 v112, vcc, s5, v116
	s_mov_b32 s4, 0x8000
	s_nop 0
	v_addc_co_u32_e32 v113, vcc, 0, v117, vcc
	v_add_co_u32_e32 v118, vcc, s4, v116
	global_load_dwordx4 v[4:7], v[116:117], off
	global_load_dwordx4 v[8:11], v[116:117], off offset:1296
	global_load_dwordx4 v[12:15], v[116:117], off offset:2592
	;; [unrolled: 1-line block ×3, first 2 shown]
	v_addc_co_u32_e32 v119, vcc, 0, v117, vcc
	v_add_co_u32_e32 v126, vcc, 0x9000, v116
	global_load_dwordx4 v[20:23], v[36:37], off offset:1088
	global_load_dwordx4 v[24:27], v[36:37], off offset:2384
	v_addc_co_u32_e32 v127, vcc, 0, v117, vcc
	global_load_dwordx4 v[28:31], v[36:37], off offset:3680
	global_load_dwordx4 v[32:35], v[76:77], off offset:880
	s_nop 0
	global_load_dwordx4 v[36:39], v[76:77], off offset:2176
	global_load_dwordx4 v[40:43], v[76:77], off offset:3472
	;; [unrolled: 1-line block ×11, first 2 shown]
	s_nop 0
	global_load_dwordx4 v[80:83], v[110:111], off offset:48
	global_load_dwordx4 v[84:87], v[110:111], off offset:1344
	;; [unrolled: 1-line block ×7, first 2 shown]
	s_nop 0
	global_load_dwordx4 v[108:111], v[118:119], off offset:928
	global_load_dwordx4 v[112:115], v[118:119], off offset:2224
	s_nop 0
	global_load_dwordx4 v[116:119], v[118:119], off offset:3520
	s_nop 0
	global_load_dwordx4 v[126:129], v[126:127], off offset:720
	s_movk_i32 s4, 0x50
	v_add_u32_e32 v0, 0, v0
	v_cmp_eq_u32_e32 vcc, s4, v122
	s_waitcnt vmcnt(29)
	ds_write_b128 v0, v[4:7]
	s_waitcnt vmcnt(28)
	ds_write_b128 v0, v[8:11] offset:1296
	s_waitcnt vmcnt(27)
	ds_write_b128 v0, v[12:15] offset:2592
	;; [unrolled: 2-line block ×29, first 2 shown]
	s_and_saveexec_b64 s[4:5], vcc
	s_cbranch_execz .LBB0_14
; %bb.13:
	v_add_co_u32_e32 v2, vcc, 0x9000, v2
	v_mov_b32_e32 v122, 0x50
	s_nop 0
	v_addc_co_u32_e32 v3, vcc, 0, v3, vcc
	global_load_dwordx4 v[2:5], v[2:3], off offset:2016
	s_waitcnt vmcnt(0)
	ds_write_b128 v1, v[2:5] offset:38880
.LBB0_14:
	s_or_b64 exec, exec, s[4:5]
.LBB0_15:
	s_or_b64 exec, exec, s[10:11]
	v_lshlrev_b32_e32 v0, 4, v122
	v_add_u32_e32 v150, 0, v0
	s_waitcnt lgkmcnt(0)
	s_barrier
	v_sub_u32_e32 v30, 0, v0
	ds_read_b64 v[2:3], v150
	ds_read_b64 v[4:5], v30 offset:38880
	s_add_u32 s4, s8, 0x9740
	s_addc_u32 s5, s9, 0
	v_cmp_ne_u32_e32 vcc, 0, v122
                                        ; implicit-def: $vgpr0_vgpr1
	s_waitcnt lgkmcnt(0)
	v_add_f64 v[16:17], v[2:3], v[4:5]
	v_add_f64 v[18:19], v[2:3], -v[4:5]
	s_and_saveexec_b64 s[10:11], vcc
	s_xor_b64 s[10:11], exec, s[10:11]
	s_cbranch_execz .LBB0_17
; %bb.16:
	v_mov_b32_e32 v123, 0
	v_lshl_add_u64 v[0:1], v[122:123], 4, s[4:5]
	global_load_dwordx4 v[6:9], v[0:1], off
	ds_read_b64 v[0:1], v30 offset:38888
	ds_read_b64 v[10:11], v150 offset:8
	v_add_f64 v[12:13], v[2:3], v[4:5]
	v_add_f64 v[4:5], v[2:3], -v[4:5]
	s_waitcnt lgkmcnt(0)
	v_add_f64 v[14:15], v[0:1], v[10:11]
	v_add_f64 v[2:3], v[10:11], -v[0:1]
	s_waitcnt vmcnt(0)
	v_fma_f64 v[18:19], v[14:15], v[8:9], v[2:3]
	v_fma_f64 v[0:1], -v[4:5], v[8:9], v[12:13]
	v_fma_f64 v[2:3], v[14:15], v[8:9], -v[2:3]
	v_fma_f64 v[10:11], v[4:5], v[8:9], v[12:13]
	v_fmac_f64_e32 v[0:1], v[14:15], v[6:7]
	v_fmac_f64_e32 v[2:3], v[4:5], v[6:7]
	v_fma_f64 v[16:17], -v[14:15], v[6:7], v[10:11]
	v_fmac_f64_e32 v[18:19], v[4:5], v[6:7]
	ds_write_b128 v30, v[0:3] offset:38880
	v_mov_b64_e32 v[0:1], v[122:123]
.LBB0_17:
	s_andn2_saveexec_b64 s[10:11], s[10:11]
	s_cbranch_execz .LBB0_19
; %bb.18:
	v_mov_b32_e32 v4, 0
	ds_read_b128 v[0:3], v4 offset:19440
	s_waitcnt lgkmcnt(0)
	v_add_f64 v[0:1], v[0:1], v[0:1]
	v_mul_f64 v[2:3], v[2:3], -2.0
	ds_write_b128 v4, v[0:3] offset:19440
	v_mov_b64_e32 v[0:1], 0
.LBB0_19:
	s_or_b64 exec, exec, s[10:11]
	v_lshl_add_u64 v[28:29], v[0:1], 4, s[4:5]
	global_load_dwordx4 v[0:3], v[28:29], off offset:1296
	global_load_dwordx4 v[4:7], v[28:29], off offset:2592
	global_load_dwordx4 v[12:15], v[28:29], off offset:3888
	v_add_u32_e32 v126, 0x144, v122
	v_mov_b32_e32 v127, 0
	v_lshl_add_u64 v[8:9], v[126:127], 4, s[4:5]
	global_load_dwordx4 v[8:11], v[8:9], off
	v_add_u32_e32 v128, 0x195, v122
	v_mov_b32_e32 v129, v127
	ds_write_b128 v150, v[16:19]
	v_lshl_add_u64 v[20:21], v[128:129], 4, s[4:5]
	ds_read_b128 v[16:19], v150 offset:1296
	ds_read_b128 v[24:27], v30 offset:37584
	global_load_dwordx4 v[20:23], v[20:21], off
	v_add_u32_e32 v132, 0x1e6, v122
	v_mov_b32_e32 v133, v127
	v_add_u32_e32 v130, 0x237, v122
	s_waitcnt lgkmcnt(0)
	v_add_f64 v[32:33], v[16:17], v[24:25]
	v_add_f64 v[34:35], v[26:27], v[18:19]
	v_add_f64 v[36:37], v[16:17], -v[24:25]
	v_add_f64 v[16:17], v[18:19], -v[26:27]
	v_mov_b32_e32 v131, v127
	v_add_u32_e32 v136, 0x288, v122
	v_mov_b32_e32 v137, v127
	v_lshl_add_u32 v129, v126, 4, 0
	v_add_u32_e32 v134, 0x2d9, v122
	v_mov_b32_e32 v135, v127
	v_lshl_add_u32 v123, v128, 4, 0
	s_movk_i32 s24, 0x3000
	s_mov_b32 s16, 0x134454ff
	s_mov_b32 s17, 0xbfee6f0e
	;; [unrolled: 1-line block ×14, first 2 shown]
	v_add_u32_e32 v151, 0xf3, v122
	s_waitcnt vmcnt(4)
	v_fma_f64 v[38:39], v[36:37], v[2:3], v[32:33]
	v_fma_f64 v[18:19], v[34:35], v[2:3], v[16:17]
	v_fma_f64 v[24:25], -v[36:37], v[2:3], v[32:33]
	v_fma_f64 v[26:27], v[34:35], v[2:3], -v[16:17]
	v_fma_f64 v[16:17], -v[34:35], v[0:1], v[38:39]
	v_fmac_f64_e32 v[18:19], v[36:37], v[0:1]
	v_fmac_f64_e32 v[24:25], v[34:35], v[0:1]
	;; [unrolled: 1-line block ×3, first 2 shown]
	ds_write_b128 v150, v[16:19] offset:1296
	ds_write_b128 v30, v[24:27] offset:37584
	v_lshl_add_u64 v[24:25], v[132:133], 4, s[4:5]
	ds_read_b128 v[0:3], v150 offset:2592
	ds_read_b128 v[16:19], v30 offset:36288
	global_load_dwordx4 v[24:27], v[24:25], off
	v_lshl_add_u32 v133, v130, 4, 0
	s_waitcnt lgkmcnt(0)
	v_add_f64 v[32:33], v[0:1], v[16:17]
	v_add_f64 v[34:35], v[18:19], v[2:3]
	v_add_f64 v[36:37], v[0:1], -v[16:17]
	v_add_f64 v[0:1], v[2:3], -v[18:19]
	s_waitcnt vmcnt(4)
	v_fma_f64 v[38:39], v[36:37], v[6:7], v[32:33]
	v_fma_f64 v[2:3], v[34:35], v[6:7], v[0:1]
	v_fma_f64 v[16:17], -v[36:37], v[6:7], v[32:33]
	v_fma_f64 v[18:19], v[34:35], v[6:7], -v[0:1]
	v_fma_f64 v[0:1], -v[34:35], v[4:5], v[38:39]
	v_fmac_f64_e32 v[2:3], v[36:37], v[4:5]
	v_fmac_f64_e32 v[16:17], v[34:35], v[4:5]
	;; [unrolled: 1-line block ×3, first 2 shown]
	ds_write_b128 v150, v[0:3] offset:2592
	ds_write_b128 v30, v[16:19] offset:36288
	v_lshl_add_u64 v[16:17], v[130:131], 4, s[4:5]
	ds_read_b128 v[0:3], v150 offset:3888
	ds_read_b128 v[4:7], v30 offset:34992
	global_load_dwordx4 v[16:19], v[16:17], off
	v_lshl_add_u32 v131, v132, 4, 0
	s_waitcnt lgkmcnt(0)
	v_add_f64 v[32:33], v[0:1], v[4:5]
	v_add_f64 v[34:35], v[6:7], v[2:3]
	v_add_f64 v[36:37], v[0:1], -v[4:5]
	v_add_f64 v[0:1], v[2:3], -v[6:7]
	s_waitcnt vmcnt(4)
	v_fma_f64 v[38:39], v[36:37], v[14:15], v[32:33]
	v_fma_f64 v[2:3], v[34:35], v[14:15], v[0:1]
	v_fma_f64 v[4:5], -v[36:37], v[14:15], v[32:33]
	v_fma_f64 v[6:7], v[34:35], v[14:15], -v[0:1]
	v_fma_f64 v[0:1], -v[34:35], v[12:13], v[38:39]
	v_fmac_f64_e32 v[2:3], v[36:37], v[12:13]
	v_fmac_f64_e32 v[4:5], v[34:35], v[12:13]
	;; [unrolled: 1-line block ×3, first 2 shown]
	ds_write_b128 v150, v[0:3] offset:3888
	ds_write_b128 v30, v[4:7] offset:34992
	v_lshl_add_u64 v[12:13], v[136:137], 4, s[4:5]
	ds_read_b128 v[0:3], v129
	ds_read_b128 v[4:7], v30 offset:33696
	global_load_dwordx4 v[12:15], v[12:13], off
	v_lshl_add_u32 v137, v134, 4, 0
	s_waitcnt lgkmcnt(0)
	v_add_f64 v[32:33], v[0:1], v[4:5]
	v_add_f64 v[34:35], v[6:7], v[2:3]
	v_add_f64 v[36:37], v[0:1], -v[4:5]
	v_add_f64 v[0:1], v[2:3], -v[6:7]
	s_waitcnt vmcnt(4)
	v_fma_f64 v[38:39], v[36:37], v[10:11], v[32:33]
	v_fma_f64 v[2:3], v[34:35], v[10:11], v[0:1]
	v_fma_f64 v[4:5], -v[36:37], v[10:11], v[32:33]
	v_fma_f64 v[6:7], v[34:35], v[10:11], -v[0:1]
	v_fma_f64 v[0:1], -v[34:35], v[8:9], v[38:39]
	v_fmac_f64_e32 v[2:3], v[36:37], v[8:9]
	v_fmac_f64_e32 v[4:5], v[34:35], v[8:9]
	;; [unrolled: 1-line block ×3, first 2 shown]
	ds_write_b128 v129, v[0:3]
	ds_write_b128 v30, v[4:7] offset:33696
	v_lshl_add_u64 v[0:1], v[134:135], 4, s[4:5]
	ds_read_b128 v[4:7], v123
	ds_read_b128 v[8:11], v30 offset:32400
	global_load_dwordx4 v[0:3], v[0:1], off
	v_lshl_add_u32 v135, v136, 4, 0
	s_movk_i32 s4, 0x4000
	s_mov_b32 s5, 0x3fe2cf23
	s_waitcnt lgkmcnt(0)
	v_add_f64 v[32:33], v[4:5], v[8:9]
	v_add_f64 v[34:35], v[10:11], v[6:7]
	v_add_f64 v[36:37], v[4:5], -v[8:9]
	v_add_f64 v[4:5], v[6:7], -v[10:11]
	s_waitcnt vmcnt(4)
	v_fma_f64 v[38:39], v[36:37], v[22:23], v[32:33]
	v_fma_f64 v[6:7], v[34:35], v[22:23], v[4:5]
	v_fma_f64 v[8:9], -v[36:37], v[22:23], v[32:33]
	v_fma_f64 v[10:11], v[34:35], v[22:23], -v[4:5]
	v_fma_f64 v[4:5], -v[34:35], v[20:21], v[38:39]
	v_fmac_f64_e32 v[6:7], v[36:37], v[20:21]
	v_fmac_f64_e32 v[8:9], v[34:35], v[20:21]
	;; [unrolled: 1-line block ×3, first 2 shown]
	ds_write_b128 v123, v[4:7]
	ds_write_b128 v30, v[8:11] offset:32400
	ds_read_b128 v[4:7], v131
	ds_read_b128 v[8:11], v30 offset:31104
	s_waitcnt lgkmcnt(0)
	v_add_f64 v[20:21], v[4:5], v[8:9]
	v_add_f64 v[22:23], v[10:11], v[6:7]
	v_add_f64 v[32:33], v[4:5], -v[8:9]
	v_add_f64 v[4:5], v[6:7], -v[10:11]
	s_waitcnt vmcnt(3)
	v_fma_f64 v[34:35], v[32:33], v[26:27], v[20:21]
	v_fma_f64 v[6:7], v[22:23], v[26:27], v[4:5]
	v_fma_f64 v[8:9], -v[32:33], v[26:27], v[20:21]
	v_fma_f64 v[10:11], v[22:23], v[26:27], -v[4:5]
	v_fma_f64 v[4:5], -v[22:23], v[24:25], v[34:35]
	v_fmac_f64_e32 v[6:7], v[32:33], v[24:25]
	v_fmac_f64_e32 v[8:9], v[22:23], v[24:25]
	v_fmac_f64_e32 v[10:11], v[32:33], v[24:25]
	v_add_co_u32_e32 v24, vcc, s24, v28
	ds_write_b128 v131, v[4:7]
	ds_write_b128 v30, v[8:11] offset:31104
	v_addc_co_u32_e32 v25, vcc, 0, v29, vcc
	global_load_dwordx4 v[4:7], v[24:25], off offset:672
	ds_read_b128 v[8:11], v133
	ds_read_b128 v[20:23], v30 offset:29808
	v_add_co_u32_e32 v28, vcc, s4, v28
	s_mov_b32 s4, s10
	s_nop 0
	v_addc_co_u32_e32 v29, vcc, 0, v29, vcc
	s_waitcnt lgkmcnt(0)
	v_add_f64 v[26:27], v[8:9], v[20:21]
	v_add_f64 v[32:33], v[22:23], v[10:11]
	v_add_f64 v[20:21], v[8:9], -v[20:21]
	v_add_f64 v[22:23], v[10:11], -v[22:23]
	s_waitcnt vmcnt(3)
	v_fma_f64 v[8:9], v[20:21], v[18:19], v[26:27]
	v_fma_f64 v[10:11], v[32:33], v[18:19], v[22:23]
	v_fma_f64 v[8:9], -v[32:33], v[16:17], v[8:9]
	v_fmac_f64_e32 v[10:11], v[20:21], v[16:17]
	ds_write_b128 v133, v[8:11]
	v_fma_f64 v[8:9], -v[20:21], v[18:19], v[26:27]
	v_fma_f64 v[10:11], v[32:33], v[18:19], -v[22:23]
	v_fmac_f64_e32 v[8:9], v[32:33], v[16:17]
	v_fmac_f64_e32 v[10:11], v[20:21], v[16:17]
	ds_write_b128 v30, v[8:11] offset:29808
	global_load_dwordx4 v[8:11], v[24:25], off offset:1968
	ds_read_b128 v[16:19], v135
	ds_read_b128 v[20:23], v30 offset:28512
	v_cmp_gt_u32_e32 vcc, 9, v122
	s_waitcnt lgkmcnt(0)
	v_add_f64 v[26:27], v[16:17], v[20:21]
	v_add_f64 v[32:33], v[22:23], v[18:19]
	v_add_f64 v[20:21], v[16:17], -v[20:21]
	v_add_f64 v[22:23], v[18:19], -v[22:23]
	s_waitcnt vmcnt(3)
	v_fma_f64 v[16:17], v[20:21], v[14:15], v[26:27]
	v_fma_f64 v[18:19], v[32:33], v[14:15], v[22:23]
	v_fma_f64 v[16:17], -v[32:33], v[12:13], v[16:17]
	v_fmac_f64_e32 v[18:19], v[20:21], v[12:13]
	ds_write_b128 v135, v[16:19]
	v_fma_f64 v[16:17], -v[20:21], v[14:15], v[26:27]
	v_fma_f64 v[18:19], v[32:33], v[14:15], -v[22:23]
	v_fmac_f64_e32 v[16:17], v[32:33], v[12:13]
	v_fmac_f64_e32 v[18:19], v[20:21], v[12:13]
	global_load_dwordx4 v[12:15], v[24:25], off offset:3264
	ds_write_b128 v30, v[16:19] offset:28512
	ds_read_b128 v[16:19], v137
	ds_read_b128 v[20:23], v30 offset:27216
	s_waitcnt lgkmcnt(0)
	v_add_f64 v[24:25], v[16:17], v[20:21]
	v_add_f64 v[26:27], v[22:23], v[18:19]
	v_add_f64 v[32:33], v[16:17], -v[20:21]
	v_add_f64 v[34:35], v[18:19], -v[22:23]
	global_load_dwordx4 v[20:23], v[28:29], off offset:464
	s_waitcnt vmcnt(4)
	v_fma_f64 v[16:17], v[32:33], v[2:3], v[24:25]
	v_fma_f64 v[18:19], v[26:27], v[2:3], v[34:35]
	v_fma_f64 v[16:17], -v[26:27], v[0:1], v[16:17]
	v_fmac_f64_e32 v[18:19], v[32:33], v[0:1]
	ds_write_b128 v137, v[16:19]
	v_fma_f64 v[16:17], -v[32:33], v[2:3], v[24:25]
	v_fma_f64 v[18:19], v[26:27], v[2:3], -v[34:35]
	v_fmac_f64_e32 v[16:17], v[26:27], v[0:1]
	v_fmac_f64_e32 v[18:19], v[32:33], v[0:1]
	ds_write_b128 v30, v[16:19] offset:27216
	ds_read_b128 v[0:3], v150 offset:12960
	ds_read_b128 v[16:19], v30 offset:25920
	s_waitcnt lgkmcnt(0)
	v_add_f64 v[24:25], v[0:1], v[16:17]
	v_add_f64 v[26:27], v[18:19], v[2:3]
	v_add_f64 v[32:33], v[0:1], -v[16:17]
	v_add_f64 v[34:35], v[2:3], -v[18:19]
	global_load_dwordx4 v[0:3], v[28:29], off offset:1760
	s_waitcnt vmcnt(4)
	v_fma_f64 v[16:17], v[32:33], v[6:7], v[24:25]
	v_fma_f64 v[18:19], v[26:27], v[6:7], v[34:35]
	v_fma_f64 v[16:17], -v[26:27], v[4:5], v[16:17]
	v_fmac_f64_e32 v[18:19], v[32:33], v[4:5]
	ds_write_b128 v150, v[16:19] offset:12960
	v_fma_f64 v[16:17], -v[32:33], v[6:7], v[24:25]
	v_fma_f64 v[18:19], v[26:27], v[6:7], -v[34:35]
	v_fmac_f64_e32 v[16:17], v[26:27], v[4:5]
	v_fmac_f64_e32 v[18:19], v[32:33], v[4:5]
	ds_write_b128 v30, v[16:19] offset:25920
	ds_read_b128 v[4:7], v150 offset:14256
	ds_read_b128 v[16:19], v30 offset:24624
	s_waitcnt lgkmcnt(0)
	v_add_f64 v[24:25], v[4:5], v[16:17]
	v_add_f64 v[26:27], v[18:19], v[6:7]
	v_add_f64 v[16:17], v[4:5], -v[16:17]
	v_add_f64 v[18:19], v[6:7], -v[18:19]
	s_waitcnt vmcnt(3)
	v_fma_f64 v[4:5], v[16:17], v[10:11], v[24:25]
	v_fma_f64 v[6:7], v[26:27], v[10:11], v[18:19]
	v_fma_f64 v[4:5], -v[26:27], v[8:9], v[4:5]
	v_fmac_f64_e32 v[6:7], v[16:17], v[8:9]
	ds_write_b128 v150, v[4:7] offset:14256
	v_fma_f64 v[4:5], -v[16:17], v[10:11], v[24:25]
	v_fma_f64 v[6:7], v[26:27], v[10:11], -v[18:19]
	v_fmac_f64_e32 v[4:5], v[26:27], v[8:9]
	v_fmac_f64_e32 v[6:7], v[16:17], v[8:9]
	ds_write_b128 v30, v[4:7] offset:24624
	ds_read_b128 v[4:7], v150 offset:15552
	ds_read_b128 v[8:11], v30 offset:23328
	s_waitcnt lgkmcnt(0)
	v_add_f64 v[16:17], v[4:5], v[8:9]
	v_add_f64 v[18:19], v[10:11], v[6:7]
	v_add_f64 v[8:9], v[4:5], -v[8:9]
	v_add_f64 v[10:11], v[6:7], -v[10:11]
	;; [unrolled: 18-line block ×4, first 2 shown]
	s_waitcnt vmcnt(0)
	v_fma_f64 v[4:5], v[8:9], v[2:3], v[12:13]
	v_fma_f64 v[6:7], v[14:15], v[2:3], v[10:11]
	v_fma_f64 v[4:5], -v[14:15], v[0:1], v[4:5]
	v_fmac_f64_e32 v[6:7], v[8:9], v[0:1]
	ds_write_b128 v150, v[4:7] offset:18144
	v_fma_f64 v[4:5], -v[8:9], v[2:3], v[12:13]
	v_fma_f64 v[6:7], v[14:15], v[2:3], -v[10:11]
	v_fmac_f64_e32 v[4:5], v[14:15], v[0:1]
	v_fmac_f64_e32 v[6:7], v[8:9], v[0:1]
	ds_write_b128 v30, v[4:7] offset:20736
	s_waitcnt lgkmcnt(0)
	s_barrier
	s_barrier
	ds_read_b128 v[52:55], v150
	ds_read_b128 v[60:63], v150 offset:1296
	ds_read_b128 v[40:43], v150 offset:7776
	;; [unrolled: 1-line block ×27, first 2 shown]
	s_waitcnt lgkmcnt(14)
	v_add_f64 v[50:51], v[44:45], v[138:139]
	v_fma_f64 v[58:59], -0.5, v[50:51], v[52:53]
	v_add_f64 v[56:57], v[42:43], -v[144:145]
	v_fma_f64 v[50:51], s[16:17], v[56:57], v[58:59]
	v_add_f64 v[112:113], v[46:47], -v[140:141]
	v_add_f64 v[114:115], v[40:41], -v[44:45]
	;; [unrolled: 1-line block ×3, first 2 shown]
	v_fmac_f64_e32 v[58:59], s[14:15], v[56:57]
	v_fmac_f64_e32 v[50:51], s[10:11], v[112:113]
	v_add_f64 v[114:115], v[114:115], v[116:117]
	v_fmac_f64_e32 v[58:59], s[4:5], v[112:113]
	v_fmac_f64_e32 v[50:51], s[12:13], v[114:115]
	;; [unrolled: 1-line block ×3, first 2 shown]
	v_add_f64 v[114:115], v[40:41], v[142:143]
	v_add_f64 v[48:49], v[52:53], v[40:41]
	v_fmac_f64_e32 v[52:53], -0.5, v[114:115]
	v_add_f64 v[48:49], v[48:49], v[44:45]
	v_fma_f64 v[116:117], s[14:15], v[112:113], v[52:53]
	v_add_f64 v[114:115], v[44:45], -v[40:41]
	v_add_f64 v[118:119], v[138:139], -v[142:143]
	v_fmac_f64_e32 v[52:53], s[16:17], v[112:113]
	v_add_f64 v[112:113], v[46:47], v[140:141]
	v_add_f64 v[48:49], v[48:49], v[138:139]
	v_fmac_f64_e32 v[116:117], s[10:11], v[56:57]
	v_add_f64 v[114:115], v[114:115], v[118:119]
	v_fmac_f64_e32 v[52:53], s[4:5], v[56:57]
	v_fma_f64 v[112:113], -0.5, v[112:113], v[54:55]
	v_add_f64 v[40:41], v[40:41], -v[142:143]
	v_add_f64 v[48:49], v[48:49], v[142:143]
	v_fmac_f64_e32 v[116:117], s[12:13], v[114:115]
	v_fmac_f64_e32 v[52:53], s[12:13], v[114:115]
	v_fma_f64 v[114:115], s[14:15], v[40:41], v[112:113]
	v_add_f64 v[118:119], v[42:43], -v[46:47]
	v_add_f64 v[142:143], v[144:145], -v[140:141]
	;; [unrolled: 1-line block ×3, first 2 shown]
	v_fmac_f64_e32 v[112:113], s[16:17], v[40:41]
	v_add_f64 v[118:119], v[118:119], v[142:143]
	v_fmac_f64_e32 v[114:115], s[4:5], v[44:45]
	v_fmac_f64_e32 v[112:113], s[10:11], v[44:45]
	;; [unrolled: 1-line block ×4, first 2 shown]
	v_add_f64 v[118:119], v[42:43], v[144:145]
	v_add_f64 v[56:57], v[54:55], v[42:43]
	v_fmac_f64_e32 v[54:55], -0.5, v[118:119]
	v_add_f64 v[56:57], v[56:57], v[46:47]
	v_fma_f64 v[118:119], s[16:17], v[44:45], v[54:55]
	v_add_f64 v[42:43], v[46:47], -v[42:43]
	v_add_f64 v[46:47], v[140:141], -v[144:145]
	v_fmac_f64_e32 v[54:55], s[14:15], v[44:45]
	v_fmac_f64_e32 v[118:119], s[4:5], v[40:41]
	v_add_f64 v[42:43], v[42:43], v[46:47]
	v_fmac_f64_e32 v[54:55], s[10:11], v[40:41]
	v_fmac_f64_e32 v[118:119], s[12:13], v[42:43]
	v_fmac_f64_e32 v[54:55], s[12:13], v[42:43]
	s_waitcnt lgkmcnt(5)
	v_add_f64 v[42:43], v[12:13], v[16:17]
	v_fma_f64 v[42:43], -0.5, v[42:43], v[24:25]
	s_waitcnt lgkmcnt(1)
	v_add_f64 v[44:45], v[10:11], -v[38:39]
	v_add_f64 v[56:57], v[56:57], v[140:141]
	v_fma_f64 v[46:47], s[16:17], v[44:45], v[42:43]
	v_add_f64 v[138:139], v[14:15], -v[18:19]
	v_add_f64 v[140:141], v[8:9], -v[12:13]
	;; [unrolled: 1-line block ×3, first 2 shown]
	v_fmac_f64_e32 v[42:43], s[14:15], v[44:45]
	v_fmac_f64_e32 v[46:47], s[10:11], v[138:139]
	v_add_f64 v[140:141], v[140:141], v[142:143]
	v_fmac_f64_e32 v[42:43], s[4:5], v[138:139]
	v_fmac_f64_e32 v[46:47], s[12:13], v[140:141]
	;; [unrolled: 1-line block ×3, first 2 shown]
	v_add_f64 v[140:141], v[8:9], v[36:37]
	v_add_f64 v[40:41], v[24:25], v[8:9]
	v_fmac_f64_e32 v[24:25], -0.5, v[140:141]
	v_fma_f64 v[140:141], s[14:15], v[138:139], v[24:25]
	v_fmac_f64_e32 v[24:25], s[16:17], v[138:139]
	v_fmac_f64_e32 v[140:141], s[10:11], v[44:45]
	;; [unrolled: 1-line block ×3, first 2 shown]
	v_add_f64 v[44:45], v[26:27], v[10:11]
	v_add_f64 v[44:45], v[44:45], v[14:15]
	;; [unrolled: 1-line block ×5, first 2 shown]
	v_add_f64 v[142:143], v[12:13], -v[8:9]
	v_add_f64 v[144:145], v[16:17], -v[36:37]
	v_add_f64 v[138:139], v[44:45], v[38:39]
	v_add_f64 v[44:45], v[14:15], v[18:19]
	v_add_f64 v[40:41], v[40:41], v[16:17]
	v_add_f64 v[142:143], v[142:143], v[144:145]
	v_fma_f64 v[44:45], -0.5, v[44:45], v[26:27]
	v_add_f64 v[8:9], v[8:9], -v[36:37]
	v_add_f64 v[40:41], v[40:41], v[36:37]
	v_fmac_f64_e32 v[140:141], s[12:13], v[142:143]
	v_fmac_f64_e32 v[24:25], s[12:13], v[142:143]
	v_fma_f64 v[36:37], s[14:15], v[8:9], v[44:45]
	v_add_f64 v[142:143], v[10:11], -v[14:15]
	v_add_f64 v[144:145], v[38:39], -v[18:19]
	;; [unrolled: 1-line block ×3, first 2 shown]
	v_fmac_f64_e32 v[44:45], s[16:17], v[8:9]
	v_add_f64 v[16:17], v[10:11], v[38:39]
	v_add_f64 v[142:143], v[142:143], v[144:145]
	v_fmac_f64_e32 v[36:37], s[4:5], v[12:13]
	v_fmac_f64_e32 v[44:45], s[10:11], v[12:13]
	v_fmac_f64_e32 v[26:27], -0.5, v[16:17]
	v_fmac_f64_e32 v[36:37], s[12:13], v[142:143]
	v_fmac_f64_e32 v[44:45], s[12:13], v[142:143]
	v_fma_f64 v[142:143], s[16:17], v[12:13], v[26:27]
	v_add_f64 v[10:11], v[14:15], -v[10:11]
	v_add_f64 v[14:15], v[18:19], -v[38:39]
	v_fmac_f64_e32 v[142:143], s[4:5], v[8:9]
	v_add_f64 v[10:11], v[10:11], v[14:15]
	v_fmac_f64_e32 v[142:143], s[12:13], v[10:11]
	v_fmac_f64_e32 v[26:27], s[14:15], v[12:13]
	;; [unrolled: 1-line block ×3, first 2 shown]
	v_mul_f64 v[144:145], v[142:143], s[16:17]
	v_mul_f64 v[152:153], v[46:47], s[4:5]
	;; [unrolled: 1-line block ×3, first 2 shown]
	v_fmac_f64_e32 v[26:27], s[12:13], v[10:11]
	v_mul_f64 v[38:39], v[36:37], s[10:11]
	v_fmac_f64_e32 v[144:145], s[12:13], v[140:141]
	v_fmac_f64_e32 v[152:153], s[18:19], v[36:37]
	v_mul_f64 v[154:155], v[44:45], s[10:11]
	v_fmac_f64_e32 v[142:143], s[14:15], v[140:141]
	v_mul_f64 v[140:141], v[44:45], s[22:23]
	v_fmac_f64_e32 v[38:39], s[18:19], v[46:47]
	v_mul_f64 v[146:147], v[26:27], s[16:17]
	v_mul_f64 v[148:149], v[26:27], s[20:21]
	v_fmac_f64_e32 v[154:155], s[22:23], v[42:43]
	v_fmac_f64_e32 v[140:141], s[4:5], v[42:43]
	v_add_f64 v[14:15], v[114:115], v[152:153]
	v_add_f64 v[42:43], v[114:115], -v[152:153]
	v_add_f64 v[114:115], v[100:101], v[104:105]
	v_add_f64 v[16:17], v[48:49], v[40:41]
	;; [unrolled: 1-line block ×4, first 2 shown]
	v_fmac_f64_e32 v[146:147], s[20:21], v[24:25]
	v_fmac_f64_e32 v[148:149], s[14:15], v[24:25]
	v_add_f64 v[18:19], v[56:57], v[138:139]
	v_add_f64 v[48:49], v[48:49], -v[40:41]
	v_add_f64 v[40:41], v[50:51], -v[38:39]
	;; [unrolled: 1-line block ×4, first 2 shown]
	v_fma_f64 v[138:139], -0.5, v[114:115], v[60:61]
	v_add_f64 v[116:117], v[98:99], -v[110:111]
	v_add_f64 v[24:25], v[52:53], v[146:147]
	v_add_f64 v[44:45], v[58:59], v[154:155]
	;; [unrolled: 1-line block ×5, first 2 shown]
	v_add_f64 v[56:57], v[52:53], -v[146:147]
	v_add_f64 v[52:53], v[58:59], -v[154:155]
	;; [unrolled: 1-line block ×5, first 2 shown]
	v_fma_f64 v[114:115], s[16:17], v[116:117], v[138:139]
	v_add_f64 v[118:119], v[102:103], -v[106:107]
	v_add_f64 v[140:141], v[96:97], -v[100:101]
	;; [unrolled: 1-line block ×3, first 2 shown]
	v_fmac_f64_e32 v[138:139], s[14:15], v[116:117]
	v_fmac_f64_e32 v[114:115], s[10:11], v[118:119]
	v_add_f64 v[140:141], v[140:141], v[142:143]
	v_fmac_f64_e32 v[138:139], s[4:5], v[118:119]
	v_fmac_f64_e32 v[114:115], s[12:13], v[140:141]
	;; [unrolled: 1-line block ×3, first 2 shown]
	v_add_f64 v[140:141], v[96:97], v[108:109]
	v_add_f64 v[112:113], v[60:61], v[96:97]
	v_fmac_f64_e32 v[60:61], -0.5, v[140:141]
	v_fma_f64 v[140:141], s[14:15], v[118:119], v[60:61]
	v_fmac_f64_e32 v[60:61], s[16:17], v[118:119]
	v_fmac_f64_e32 v[140:141], s[10:11], v[116:117]
	;; [unrolled: 1-line block ×3, first 2 shown]
	v_add_f64 v[116:117], v[62:63], v[98:99]
	v_add_f64 v[116:117], v[116:117], v[102:103]
	;; [unrolled: 1-line block ×3, first 2 shown]
	v_add_f64 v[142:143], v[100:101], -v[96:97]
	v_add_f64 v[144:145], v[104:105], -v[108:109]
	v_add_f64 v[116:117], v[116:117], v[106:107]
	v_add_f64 v[112:113], v[112:113], v[104:105]
	;; [unrolled: 1-line block ×5, first 2 shown]
	v_add_f64 v[100:101], v[100:101], -v[104:105]
	v_add_f64 v[104:105], v[98:99], v[110:111]
	v_fmac_f64_e32 v[140:141], s[12:13], v[142:143]
	v_fmac_f64_e32 v[60:61], s[12:13], v[142:143]
	v_fma_f64 v[142:143], -0.5, v[116:117], v[62:63]
	v_fmac_f64_e32 v[62:63], -0.5, v[104:105]
	v_add_f64 v[112:113], v[112:113], v[108:109]
	v_add_f64 v[96:97], v[96:97], -v[108:109]
	v_add_f64 v[108:109], v[98:99], -v[102:103]
	v_fma_f64 v[148:149], s[16:17], v[100:101], v[62:63]
	v_add_f64 v[98:99], v[102:103], -v[98:99]
	v_add_f64 v[102:103], v[106:107], -v[110:111]
	v_fmac_f64_e32 v[62:63], s[14:15], v[100:101]
	v_fmac_f64_e32 v[148:149], s[4:5], v[96:97]
	v_add_f64 v[98:99], v[98:99], v[102:103]
	v_fmac_f64_e32 v[62:63], s[10:11], v[96:97]
	v_fma_f64 v[146:147], s[14:15], v[96:97], v[142:143]
	v_fmac_f64_e32 v[142:143], s[16:17], v[96:97]
	v_fmac_f64_e32 v[148:149], s[12:13], v[98:99]
	;; [unrolled: 1-line block ×3, first 2 shown]
	ds_read_b128 v[96:99], v150 offset:36288
	v_fmac_f64_e32 v[146:147], s[4:5], v[100:101]
	v_fmac_f64_e32 v[142:143], s[10:11], v[100:101]
	v_add_f64 v[100:101], v[80:81], v[84:85]
	v_add_f64 v[100:101], v[100:101], v[88:89]
	v_add_f64 v[116:117], v[110:111], -v[106:107]
	v_add_f64 v[100:101], v[100:101], v[92:93]
	v_add_f64 v[108:109], v[108:109], v[116:117]
	ds_read_b128 v[116:119], v150 offset:37584
	s_waitcnt lgkmcnt(1)
	v_add_f64 v[152:153], v[100:101], v[96:97]
	v_add_f64 v[100:101], v[88:89], v[92:93]
	v_fma_f64 v[102:103], -0.5, v[100:101], v[80:81]
	v_add_f64 v[100:101], v[86:87], -v[98:99]
	v_fmac_f64_e32 v[146:147], s[12:13], v[108:109]
	v_fmac_f64_e32 v[142:143], s[12:13], v[108:109]
	v_fma_f64 v[104:105], s[16:17], v[100:101], v[102:103]
	v_add_f64 v[106:107], v[90:91], -v[94:95]
	v_add_f64 v[108:109], v[84:85], -v[88:89]
	;; [unrolled: 1-line block ×3, first 2 shown]
	v_fmac_f64_e32 v[102:103], s[14:15], v[100:101]
	v_fmac_f64_e32 v[104:105], s[10:11], v[106:107]
	v_add_f64 v[108:109], v[108:109], v[110:111]
	v_fmac_f64_e32 v[102:103], s[4:5], v[106:107]
	v_fmac_f64_e32 v[104:105], s[12:13], v[108:109]
	;; [unrolled: 1-line block ×3, first 2 shown]
	v_add_f64 v[108:109], v[84:85], v[96:97]
	v_fmac_f64_e32 v[80:81], -0.5, v[108:109]
	v_fma_f64 v[110:111], s[14:15], v[106:107], v[80:81]
	v_fmac_f64_e32 v[80:81], s[16:17], v[106:107]
	v_fmac_f64_e32 v[110:111], s[10:11], v[100:101]
	;; [unrolled: 1-line block ×3, first 2 shown]
	v_add_f64 v[100:101], v[82:83], v[86:87]
	v_add_f64 v[100:101], v[100:101], v[90:91]
	v_add_f64 v[108:109], v[88:89], -v[84:85]
	v_add_f64 v[154:155], v[92:93], -v[96:97]
	v_add_f64 v[100:101], v[100:101], v[94:95]
	v_add_f64 v[108:109], v[108:109], v[154:155]
	;; [unrolled: 1-line block ×4, first 2 shown]
	v_add_f64 v[88:89], v[88:89], -v[92:93]
	v_add_f64 v[92:93], v[86:87], v[98:99]
	v_fma_f64 v[106:107], -0.5, v[100:101], v[82:83]
	v_add_f64 v[84:85], v[84:85], -v[96:97]
	v_fmac_f64_e32 v[82:83], -0.5, v[92:93]
	v_fmac_f64_e32 v[110:111], s[12:13], v[108:109]
	v_fmac_f64_e32 v[80:81], s[12:13], v[108:109]
	v_fma_f64 v[96:97], s[14:15], v[84:85], v[106:107]
	v_add_f64 v[100:101], v[86:87], -v[90:91]
	v_add_f64 v[108:109], v[98:99], -v[94:95]
	v_fmac_f64_e32 v[106:107], s[16:17], v[84:85]
	v_fma_f64 v[156:157], s[16:17], v[88:89], v[82:83]
	v_add_f64 v[86:87], v[90:91], -v[86:87]
	v_add_f64 v[90:91], v[94:95], -v[98:99]
	v_fmac_f64_e32 v[82:83], s[14:15], v[88:89]
	v_add_f64 v[100:101], v[100:101], v[108:109]
	v_fmac_f64_e32 v[106:107], s[10:11], v[88:89]
	v_add_f64 v[86:87], v[86:87], v[90:91]
	v_fmac_f64_e32 v[82:83], s[10:11], v[84:85]
	v_fmac_f64_e32 v[96:97], s[4:5], v[88:89]
	;; [unrolled: 1-line block ×7, first 2 shown]
	v_mul_f64 v[98:99], v[82:83], s[16:17]
	v_mul_f64 v[160:161], v[106:107], s[10:11]
	;; [unrolled: 1-line block ×4, first 2 shown]
	v_fmac_f64_e32 v[98:99], s[20:21], v[80:81]
	v_mul_f64 v[82:83], v[82:83], s[20:21]
	v_fmac_f64_e32 v[160:161], s[22:23], v[102:103]
	v_mul_f64 v[156:157], v[156:157], s[12:13]
	v_fmac_f64_e32 v[84:85], s[18:19], v[104:105]
	v_fmac_f64_e32 v[86:87], s[12:13], v[110:111]
	;; [unrolled: 1-line block ×3, first 2 shown]
	v_add_f64 v[88:89], v[60:61], v[98:99]
	v_mul_f64 v[158:159], v[104:105], s[4:5]
	v_fmac_f64_e32 v[156:157], s[14:15], v[110:111]
	v_add_f64 v[104:105], v[138:139], v[160:161]
	v_add_f64 v[80:81], v[60:61], -v[98:99]
	v_add_f64 v[60:61], v[138:139], -v[160:161]
	v_add_f64 v[138:139], v[0:1], v[64:65]
	v_add_f64 v[100:101], v[114:115], v[84:85]
	;; [unrolled: 1-line block ×3, first 2 shown]
	v_fmac_f64_e32 v[158:159], s[18:19], v[96:97]
	v_mul_f64 v[162:163], v[106:107], s[22:23]
	v_add_f64 v[94:95], v[148:149], v[156:157]
	v_add_f64 v[96:97], v[114:115], -v[84:85]
	v_add_f64 v[84:85], v[140:141], -v[86:87]
	;; [unrolled: 1-line block ×3, first 2 shown]
	v_add_f64 v[148:149], v[138:139], v[68:69]
	v_add_f64 v[138:139], v[68:69], v[72:73]
	v_fmac_f64_e32 v[162:163], s[4:5], v[102:103]
	v_fma_f64 v[140:141], -0.5, v[138:139], v[0:1]
	v_add_f64 v[138:139], v[66:67], -v[78:79]
	v_add_f64 v[108:109], v[112:113], v[152:153]
	v_add_f64 v[110:111], v[144:145], v[154:155]
	v_add_f64 v[102:103], v[146:147], v[158:159]
	v_add_f64 v[90:91], v[62:63], v[82:83]
	v_add_f64 v[106:107], v[142:143], v[162:163]
	v_add_f64 v[112:113], v[112:113], -v[152:153]
	v_add_f64 v[114:115], v[144:145], -v[154:155]
	;; [unrolled: 1-line block ×5, first 2 shown]
	v_fma_f64 v[142:143], s[16:17], v[138:139], v[140:141]
	v_add_f64 v[146:147], v[70:71], -v[74:75]
	v_add_f64 v[144:145], v[64:65], -v[68:69]
	;; [unrolled: 1-line block ×3, first 2 shown]
	v_fmac_f64_e32 v[140:141], s[14:15], v[138:139]
	v_fmac_f64_e32 v[142:143], s[10:11], v[146:147]
	v_add_f64 v[144:145], v[144:145], v[152:153]
	v_fmac_f64_e32 v[140:141], s[4:5], v[146:147]
	v_fmac_f64_e32 v[142:143], s[12:13], v[144:145]
	;; [unrolled: 1-line block ×3, first 2 shown]
	v_add_f64 v[144:145], v[64:65], v[76:77]
	v_fmac_f64_e32 v[0:1], -0.5, v[144:145]
	v_fma_f64 v[144:145], s[14:15], v[146:147], v[0:1]
	v_add_f64 v[152:153], v[68:69], -v[64:65]
	v_add_f64 v[154:155], v[72:73], -v[76:77]
	v_fmac_f64_e32 v[0:1], s[16:17], v[146:147]
	v_fmac_f64_e32 v[144:145], s[10:11], v[138:139]
	v_add_f64 v[152:153], v[152:153], v[154:155]
	v_fmac_f64_e32 v[0:1], s[4:5], v[138:139]
	v_add_f64 v[138:139], v[2:3], v[66:67]
	v_fmac_f64_e32 v[144:145], s[12:13], v[152:153]
	v_fmac_f64_e32 v[0:1], s[12:13], v[152:153]
	v_add_f64 v[152:153], v[138:139], v[70:71]
	v_add_f64 v[138:139], v[70:71], v[74:75]
	v_fma_f64 v[138:139], -0.5, v[138:139], v[2:3]
	v_add_f64 v[64:65], v[64:65], -v[76:77]
	v_add_f64 v[154:155], v[66:67], -v[70:71]
	;; [unrolled: 1-line block ×3, first 2 shown]
	v_fma_f64 v[146:147], s[14:15], v[64:65], v[138:139]
	v_add_f64 v[154:155], v[154:155], v[156:157]
	v_add_f64 v[156:157], v[68:69], -v[72:73]
	v_fmac_f64_e32 v[138:139], s[16:17], v[64:65]
	v_fmac_f64_e32 v[146:147], s[4:5], v[156:157]
	;; [unrolled: 1-line block ×5, first 2 shown]
	v_add_f64 v[154:155], v[70:71], -v[66:67]
	v_add_f64 v[66:67], v[66:67], v[78:79]
	v_fmac_f64_e32 v[2:3], -0.5, v[66:67]
	v_fma_f64 v[70:71], s[16:17], v[156:157], v[2:3]
	v_add_f64 v[66:67], v[74:75], -v[78:79]
	v_fmac_f64_e32 v[2:3], s[14:15], v[156:157]
	v_fmac_f64_e32 v[70:71], s[4:5], v[64:65]
	v_add_f64 v[66:67], v[154:155], v[66:67]
	v_fmac_f64_e32 v[2:3], s[10:11], v[64:65]
	v_add_f64 v[68:69], v[148:149], v[72:73]
	v_fmac_f64_e32 v[70:71], s[12:13], v[66:67]
	v_fmac_f64_e32 v[2:3], s[12:13], v[66:67]
	v_add_f64 v[66:67], v[28:29], v[32:33]
	v_add_f64 v[72:73], v[68:69], v[76:77]
	;; [unrolled: 1-line block ×3, first 2 shown]
	v_fma_f64 v[66:67], -0.5, v[66:67], v[4:5]
	s_waitcnt lgkmcnt(0)
	v_add_f64 v[74:75], v[22:23], -v[118:119]
	v_add_f64 v[68:69], v[68:69], v[78:79]
	v_fma_f64 v[76:77], s[16:17], v[74:75], v[66:67]
	v_add_f64 v[78:79], v[30:31], -v[34:35]
	v_add_f64 v[148:149], v[20:21], -v[28:29]
	;; [unrolled: 1-line block ×3, first 2 shown]
	v_fmac_f64_e32 v[66:67], s[14:15], v[74:75]
	v_fmac_f64_e32 v[76:77], s[10:11], v[78:79]
	v_add_f64 v[148:149], v[148:149], v[152:153]
	v_fmac_f64_e32 v[66:67], s[4:5], v[78:79]
	v_fmac_f64_e32 v[76:77], s[12:13], v[148:149]
	;; [unrolled: 1-line block ×3, first 2 shown]
	v_add_f64 v[148:149], v[20:21], v[116:117]
	v_add_f64 v[64:65], v[4:5], v[20:21]
	v_fmac_f64_e32 v[4:5], -0.5, v[148:149]
	v_fma_f64 v[148:149], s[14:15], v[78:79], v[4:5]
	v_add_f64 v[152:153], v[28:29], -v[20:21]
	v_add_f64 v[154:155], v[32:33], -v[116:117]
	v_fmac_f64_e32 v[4:5], s[16:17], v[78:79]
	v_fmac_f64_e32 v[148:149], s[10:11], v[74:75]
	v_add_f64 v[152:153], v[152:153], v[154:155]
	v_fmac_f64_e32 v[4:5], s[4:5], v[74:75]
	v_add_f64 v[74:75], v[30:31], v[34:35]
	v_fmac_f64_e32 v[148:149], s[12:13], v[152:153]
	v_fmac_f64_e32 v[4:5], s[12:13], v[152:153]
	v_fma_f64 v[74:75], -0.5, v[74:75], v[6:7]
	v_add_f64 v[20:21], v[20:21], -v[116:117]
	v_add_f64 v[78:79], v[22:23], -v[30:31]
	;; [unrolled: 1-line block ×4, first 2 shown]
	v_add_f64 v[28:29], v[64:65], v[28:29]
	v_add_f64 v[64:65], v[6:7], v[22:23]
	;; [unrolled: 1-line block ×3, first 2 shown]
	v_fma_f64 v[152:153], s[14:15], v[20:21], v[74:75]
	v_fmac_f64_e32 v[74:75], s[16:17], v[20:21]
	v_add_f64 v[64:65], v[64:65], v[30:31]
	v_add_f64 v[30:31], v[30:31], -v[22:23]
	v_add_f64 v[28:29], v[28:29], v[32:33]
	v_add_f64 v[22:23], v[22:23], v[118:119]
	v_fmac_f64_e32 v[152:153], s[4:5], v[154:155]
	v_fmac_f64_e32 v[74:75], s[10:11], v[154:155]
	v_add_f64 v[32:33], v[28:29], v[116:117]
	v_add_f64 v[28:29], v[64:65], v[34:35]
	v_fmac_f64_e32 v[6:7], -0.5, v[22:23]
	v_fmac_f64_e32 v[152:153], s[12:13], v[78:79]
	v_fmac_f64_e32 v[74:75], s[12:13], v[78:79]
	v_add_f64 v[78:79], v[28:29], v[118:119]
	v_fma_f64 v[22:23], s[16:17], v[154:155], v[6:7]
	v_add_f64 v[28:29], v[34:35], -v[118:119]
	v_fmac_f64_e32 v[22:23], s[4:5], v[20:21]
	v_add_f64 v[28:29], v[30:31], v[28:29]
	v_fmac_f64_e32 v[6:7], s[14:15], v[154:155]
	v_fmac_f64_e32 v[22:23], s[12:13], v[28:29]
	;; [unrolled: 1-line block ×4, first 2 shown]
	v_mul_f64 v[156:157], v[22:23], s[16:17]
	v_mul_f64 v[164:165], v[22:23], s[12:13]
	v_fmac_f64_e32 v[156:157], s[12:13], v[148:149]
	v_mul_f64 v[160:161], v[6:7], s[20:21]
	v_mul_f64 v[162:163], v[76:77], s[4:5]
	v_fmac_f64_e32 v[164:165], s[14:15], v[148:149]
	v_mul_f64 v[148:149], v[74:75], s[22:23]
	v_mul_f64 v[154:155], v[152:153], s[10:11]
	;; [unrolled: 1-line block ×3, first 2 shown]
	v_fmac_f64_e32 v[160:161], s[14:15], v[4:5]
	v_fmac_f64_e32 v[162:163], s[18:19], v[152:153]
	v_mul_f64 v[152:153], v[74:75], s[10:11]
	v_fmac_f64_e32 v[148:149], s[4:5], v[66:67]
	v_fmac_f64_e32 v[158:159], s[20:21], v[4:5]
	;; [unrolled: 1-line block ×3, first 2 shown]
	v_add_f64 v[6:7], v[70:71], v[164:165]
	v_add_f64 v[66:67], v[2:3], v[160:161]
	;; [unrolled: 1-line block ×3, first 2 shown]
	v_add_f64 v[74:75], v[70:71], -v[164:165]
	v_add_f64 v[70:71], v[2:3], -v[160:161]
	;; [unrolled: 1-line block ×3, first 2 shown]
	v_mul_u32_u24_e32 v138, 10, v122
	v_fmac_f64_e32 v[154:155], s[18:19], v[76:77]
	v_add_f64 v[64:65], v[0:1], v[158:159]
	v_add_f64 v[30:31], v[68:69], v[78:79]
	v_add_f64 v[34:35], v[68:69], -v[78:79]
	v_add_f64 v[68:69], v[0:1], -v[158:159]
	;; [unrolled: 1-line block ×3, first 2 shown]
	v_lshl_add_u32 v138, v138, 4, 0
	s_movk_i32 s4, 0xcd
	v_add_f64 v[28:29], v[72:73], v[32:33]
	v_add_f64 v[20:21], v[142:143], v[154:155]
	;; [unrolled: 1-line block ×3, first 2 shown]
	v_add_f64 v[32:33], v[72:73], -v[32:33]
	v_add_f64 v[116:117], v[140:141], v[152:153]
	v_add_f64 v[22:23], v[146:147], v[162:163]
	v_add_f64 v[76:77], v[142:143], -v[154:155]
	v_add_f64 v[72:73], v[144:145], -v[156:157]
	v_add_f64 v[78:79], v[146:147], -v[162:163]
	s_barrier
	ds_write_b128 v138, v[16:19]
	ds_write_b128 v138, v[12:15] offset:16
	ds_write_b128 v138, v[8:11] offset:32
	ds_write_b128 v138, v[24:27] offset:48
	ds_write_b128 v138, v[44:47] offset:64
	ds_write_b128 v138, v[48:51] offset:80
	ds_write_b128 v138, v[40:43] offset:96
	ds_write_b128 v138, v[36:39] offset:112
	ds_write_b128 v138, v[56:59] offset:128
	ds_write_b128 v138, v[52:55] offset:144
	ds_write_b128 v138, v[108:111] offset:12960
	ds_write_b128 v138, v[100:103] offset:12976
	ds_write_b128 v138, v[92:95] offset:12992
	ds_write_b128 v138, v[88:91] offset:13008
	ds_write_b128 v138, v[104:107] offset:13024
	ds_write_b128 v138, v[112:115] offset:13040
	ds_write_b128 v138, v[96:99] offset:13056
	ds_write_b128 v138, v[84:87] offset:13072
	ds_write_b128 v138, v[80:83] offset:13088
	ds_write_b128 v138, v[60:63] offset:13104
	ds_write_b128 v138, v[28:31] offset:25920
	ds_write_b128 v138, v[20:23] offset:25936
	ds_write_b128 v138, v[4:7] offset:25952
	ds_write_b128 v138, v[64:67] offset:25968
	ds_write_b128 v138, v[116:119] offset:25984
	ds_write_b128 v138, v[32:35] offset:26000
	ds_write_b128 v138, v[76:79] offset:26016
	ds_write_b128 v138, v[72:75] offset:26032
	ds_write_b128 v138, v[68:71] offset:26048
	ds_write_b128 v138, v[0:3] offset:26064
	v_mul_lo_u16_sdwa v0, v122, s4 dst_sel:DWORD dst_unused:UNUSED_PAD src0_sel:BYTE_0 src1_sel:DWORD
	v_lshrrev_b16_e32 v154, 11, v0
	v_mul_lo_u16_e32 v0, 10, v154
	v_sub_u16_e32 v162, v122, v0
	v_mov_b32_e32 v155, 5
	v_lshlrev_b32_sdwa v0, v155, v162 dst_sel:DWORD dst_unused:UNUSED_PAD src0_sel:DWORD src1_sel:BYTE_0
	s_waitcnt lgkmcnt(0)
	s_barrier
	global_load_dwordx4 v[36:39], v0, s[8:9]
	global_load_dwordx4 v[12:15], v0, s[8:9] offset:16
	v_add_u32_e32 v153, 0x51, v122
	v_mul_lo_u16_sdwa v0, v153, s4 dst_sel:DWORD dst_unused:UNUSED_PAD src0_sel:BYTE_0 src1_sel:DWORD
	v_lshrrev_b16_e32 v156, 11, v0
	v_mul_lo_u16_e32 v0, 10, v156
	v_sub_u16_e32 v157, v153, v0
	v_lshlrev_b32_sdwa v0, v155, v157 dst_sel:DWORD dst_unused:UNUSED_PAD src0_sel:DWORD src1_sel:BYTE_0
	global_load_dwordx4 v[16:19], v0, s[8:9]
	global_load_dwordx4 v[8:11], v0, s[8:9] offset:16
	v_add_u32_e32 v152, 0xa2, v122
	v_mul_lo_u16_sdwa v0, v152, s4 dst_sel:DWORD dst_unused:UNUSED_PAD src0_sel:BYTE_0 src1_sel:DWORD
	v_lshrrev_b16_e32 v158, 11, v0
	v_mul_lo_u16_e32 v0, 10, v158
	v_sub_u16_e32 v159, v152, v0
	v_lshlrev_b32_sdwa v0, v155, v159 dst_sel:DWORD dst_unused:UNUSED_PAD src0_sel:DWORD src1_sel:BYTE_0
	s_mov_b32 s4, 0xcccd
	global_load_dwordx4 v[24:27], v0, s[8:9]
	global_load_dwordx4 v[20:23], v0, s[8:9] offset:16
	v_mul_u32_u24_sdwa v0, v151, s4 dst_sel:DWORD dst_unused:UNUSED_PAD src0_sel:WORD_0 src1_sel:DWORD
	v_lshrrev_b32_e32 v160, 19, v0
	v_mul_lo_u16_e32 v0, 10, v160
	v_sub_u16_e32 v161, v151, v0
	v_lshlrev_b32_e32 v28, 5, v161
	global_load_dwordx4 v[32:35], v28, s[8:9]
	v_mul_u32_u24_sdwa v40, v126, s4 dst_sel:DWORD dst_unused:UNUSED_PAD src0_sel:WORD_0 src1_sel:DWORD
	v_lshrrev_b32_e32 v164, 19, v40
	v_mul_lo_u16_e32 v40, 10, v164
	v_sub_u16_e32 v163, v126, v40
	ds_read_b128 v[4:7], v150
	ds_read_b128 v[0:3], v150 offset:1296
	global_load_dwordx4 v[28:31], v28, s[8:9] offset:16
	v_lshlrev_b32_e32 v44, 5, v163
	global_load_dwordx4 v[48:51], v44, s[8:9]
	v_mul_u32_u24_sdwa v52, v128, s4 dst_sel:DWORD dst_unused:UNUSED_PAD src0_sel:WORD_0 src1_sel:DWORD
	v_lshrrev_b32_e32 v166, 19, v52
	v_mul_lo_u16_e32 v52, 10, v166
	v_sub_u16_e32 v165, v128, v52
	v_lshlrev_b32_e32 v52, 5, v165
	ds_read_b128 v[68:71], v150 offset:12960
	ds_read_b128 v[40:43], v150 offset:14256
	;; [unrolled: 1-line block ×4, first 2 shown]
	global_load_dwordx4 v[44:47], v44, s[8:9] offset:16
	v_mul_u32_u24_sdwa v72, v132, s4 dst_sel:DWORD dst_unused:UNUSED_PAD src0_sel:WORD_0 src1_sel:DWORD
	global_load_dwordx4 v[56:59], v52, s[8:9]
	v_lshrrev_b32_e32 v171, 19, v72
	global_load_dwordx4 v[52:55], v52, s[8:9] offset:16
	v_mul_lo_u16_e32 v72, 10, v171
	v_sub_u16_e32 v172, v132, v72
	v_lshlrev_b32_e32 v76, 5, v172
	global_load_dwordx4 v[72:75], v76, s[8:9]
	s_mov_b32 s11, 0x3febb67a
	s_mov_b32 s12, 0x5040100
	s_movk_i32 s13, 0x1e0
	s_movk_i32 s14, 0x1000
	;; [unrolled: 1-line block ×3, first 2 shown]
	s_waitcnt vmcnt(12) lgkmcnt(3)
	v_mul_f64 v[84:85], v[70:71], v[38:39]
	v_mul_f64 v[38:39], v[68:69], v[38:39]
	v_fmac_f64_e32 v[84:85], v[68:69], v[36:37]
	v_fma_f64 v[86:87], v[70:71], v[36:37], -v[38:39]
	v_mul_u32_u24_sdwa v36, v130, s4 dst_sel:DWORD dst_unused:UNUSED_PAD src0_sel:WORD_0 src1_sel:DWORD
	v_lshrrev_b32_e32 v174, 19, v36
	v_mul_lo_u16_e32 v36, 10, v174
	v_sub_u16_e32 v173, v130, v36
	v_lshlrev_b32_e32 v36, 5, v173
	global_load_dwordx4 v[80:83], v36, s[8:9]
	global_load_dwordx4 v[68:71], v76, s[8:9] offset:16
	s_waitcnt vmcnt(13) lgkmcnt(1)
	v_mul_f64 v[88:89], v[66:67], v[14:15]
	global_load_dwordx4 v[76:79], v36, s[8:9] offset:16
	v_mul_u32_u24_sdwa v36, v136, s4 dst_sel:DWORD dst_unused:UNUSED_PAD src0_sel:WORD_0 src1_sel:DWORD
	v_lshrrev_b32_e32 v168, 19, v36
	v_mul_lo_u16_e32 v36, 10, v168
	v_sub_u16_e32 v167, v136, v36
	v_mul_f64 v[14:15], v[64:65], v[14:15]
	v_lshlrev_b32_e32 v36, 5, v167
	v_fmac_f64_e32 v[88:89], v[64:65], v[12:13]
	v_fma_f64 v[66:67], v[66:67], v[12:13], -v[14:15]
	global_load_dwordx4 v[12:15], v36, s[8:9]
	global_load_dwordx4 v[142:145], v36, s[8:9] offset:16
	v_mul_u32_u24_sdwa v36, v134, s4 dst_sel:DWORD dst_unused:UNUSED_PAD src0_sel:WORD_0 src1_sel:DWORD
	v_lshrrev_b32_e32 v170, 19, v36
	v_mul_lo_u16_e32 v36, 10, v170
	v_sub_u16_e32 v169, v134, v36
	v_lshlrev_b32_e32 v90, 5, v169
	s_waitcnt vmcnt(15)
	v_mul_f64 v[64:65], v[42:43], v[18:19]
	global_load_dwordx4 v[146:149], v90, s[8:9]
	v_mul_f64 v[18:19], v[40:41], v[18:19]
	v_fmac_f64_e32 v[64:65], v[40:41], v[16:17]
	v_fma_f64 v[96:97], v[42:43], v[16:17], -v[18:19]
	ds_read_b128 v[40:43], v150 offset:2592
	ds_read_b128 v[36:39], v150 offset:3888
	global_load_dwordx4 v[16:19], v90, s[8:9] offset:16
	s_waitcnt vmcnt(16) lgkmcnt(2)
	v_mul_f64 v[102:103], v[62:63], v[10:11]
	v_mul_f64 v[10:11], v[60:61], v[10:11]
	ds_read_b128 v[90:93], v150 offset:15552
	v_fmac_f64_e32 v[102:103], v[60:61], v[8:9]
	v_fma_f64 v[116:117], v[62:63], v[8:9], -v[10:11]
	ds_read_b128 v[8:11], v150 offset:16848
	ds_read_b128 v[104:107], v150 offset:28512
	s_waitcnt vmcnt(15) lgkmcnt(2)
	v_mul_f64 v[62:63], v[92:93], v[26:27]
	v_mul_f64 v[26:27], v[90:91], v[26:27]
	v_fmac_f64_e32 v[62:63], v[90:91], v[24:25]
	s_waitcnt vmcnt(13) lgkmcnt(1)
	v_mul_f64 v[60:61], v[10:11], v[34:35]
	v_fma_f64 v[98:99], v[92:93], v[24:25], -v[26:27]
	ds_read_b128 v[24:27], v150 offset:29808
	v_fmac_f64_e32 v[60:61], v[8:9], v[32:33]
	v_mul_f64 v[8:9], v[8:9], v[34:35]
	v_fma_f64 v[90:91], v[10:11], v[32:33], -v[8:9]
	ds_read_b128 v[8:11], v150 offset:18144
	s_waitcnt lgkmcnt(2)
	v_mul_f64 v[100:101], v[106:107], v[22:23]
	v_mul_f64 v[22:23], v[104:105], v[22:23]
	v_fmac_f64_e32 v[100:101], v[104:105], v[20:21]
	v_fma_f64 v[110:111], v[106:107], v[20:21], -v[22:23]
	s_waitcnt vmcnt(12) lgkmcnt(1)
	v_mul_f64 v[20:21], v[24:25], v[30:31]
	v_fma_f64 v[104:105], v[26:27], v[28:29], -v[20:21]
	ds_read_b128 v[20:23], v150 offset:19440
	s_waitcnt vmcnt(11) lgkmcnt(1)
	v_mul_f64 v[32:33], v[10:11], v[50:51]
	v_mul_f64 v[92:93], v[26:27], v[30:31]
	v_fmac_f64_e32 v[32:33], v[8:9], v[48:49]
	v_mul_f64 v[8:9], v[8:9], v[50:51]
	v_fmac_f64_e32 v[92:93], v[24:25], v[28:29]
	ds_read_b128 v[24:27], v150 offset:31104
	v_fma_f64 v[94:95], v[10:11], v[48:49], -v[8:9]
	ds_read_b128 v[8:11], v150 offset:32400
	s_waitcnt vmcnt(9) lgkmcnt(2)
	v_mul_f64 v[34:35], v[22:23], v[58:59]
	v_fmac_f64_e32 v[34:35], v[20:21], v[56:57]
	v_mul_f64 v[20:21], v[20:21], v[58:59]
	v_fma_f64 v[50:51], v[22:23], v[56:57], -v[20:21]
	s_waitcnt vmcnt(8) lgkmcnt(0)
	v_mul_f64 v[56:57], v[10:11], v[54:55]
	ds_read_b128 v[20:23], v150 offset:20736
	v_fmac_f64_e32 v[56:57], v[8:9], v[52:53]
	v_mul_f64 v[8:9], v[8:9], v[54:55]
	v_fma_f64 v[108:109], v[10:11], v[52:53], -v[8:9]
	ds_read_b128 v[8:11], v150 offset:22032
	v_mul_f64 v[106:107], v[26:27], v[46:47]
	v_fmac_f64_e32 v[106:107], v[24:25], v[44:45]
	v_mul_f64 v[24:25], v[24:25], v[46:47]
	v_fma_f64 v[118:119], v[26:27], v[44:45], -v[24:25]
	s_waitcnt vmcnt(7) lgkmcnt(1)
	v_mul_f64 v[44:45], v[22:23], v[74:75]
	v_fmac_f64_e32 v[44:45], v[20:21], v[72:73]
	v_mul_f64 v[20:21], v[20:21], v[74:75]
	ds_read_b128 v[24:27], v150 offset:33696
	v_fma_f64 v[58:59], v[22:23], v[72:73], -v[20:21]
	ds_read_b128 v[20:23], v150 offset:34992
	s_mov_b32 s4, 0xe8584caa
	s_mov_b32 s5, 0xbfebb67a
	s_waitcnt vmcnt(6) lgkmcnt(2)
	v_mul_f64 v[46:47], v[10:11], v[82:83]
	v_fmac_f64_e32 v[46:47], v[8:9], v[80:81]
	v_mul_f64 v[8:9], v[8:9], v[82:83]
	v_fma_f64 v[52:53], v[10:11], v[80:81], -v[8:9]
	ds_read_b128 v[8:11], v150 offset:23328
	s_waitcnt vmcnt(5) lgkmcnt(2)
	v_mul_f64 v[112:113], v[26:27], v[70:71]
	s_waitcnt vmcnt(4) lgkmcnt(1)
	v_mul_f64 v[54:55], v[22:23], v[78:79]
	v_fmac_f64_e32 v[112:113], v[24:25], v[68:69]
	v_mul_f64 v[24:25], v[24:25], v[70:71]
	v_fmac_f64_e32 v[54:55], v[20:21], v[76:77]
	v_mul_f64 v[20:21], v[20:21], v[78:79]
	v_fma_f64 v[140:141], v[26:27], v[68:69], -v[24:25]
	v_fma_f64 v[82:83], v[22:23], v[76:77], -v[20:21]
	ds_read_b128 v[20:23], v150 offset:24624
	s_waitcnt vmcnt(3) lgkmcnt(1)
	v_mul_f64 v[48:49], v[10:11], v[14:15]
	ds_read_b128 v[24:27], v150 offset:36288
	v_fmac_f64_e32 v[48:49], v[8:9], v[12:13]
	v_mul_f64 v[8:9], v[8:9], v[14:15]
	v_fma_f64 v[80:81], v[10:11], v[12:13], -v[8:9]
	ds_read_b128 v[8:11], v150 offset:37584
	s_waitcnt vmcnt(2) lgkmcnt(1)
	v_mul_f64 v[114:115], v[26:27], v[144:145]
	v_mul_f64 v[12:13], v[24:25], v[144:145]
	v_fmac_f64_e32 v[114:115], v[24:25], v[142:143]
	v_fma_f64 v[142:143], v[26:27], v[142:143], -v[12:13]
	s_waitcnt vmcnt(1)
	v_mul_f64 v[138:139], v[22:23], v[148:149]
	v_mul_f64 v[12:13], v[20:21], v[148:149]
	v_fmac_f64_e32 v[138:139], v[20:21], v[146:147]
	v_fma_f64 v[144:145], v[22:23], v[146:147], -v[12:13]
	s_waitcnt vmcnt(0) lgkmcnt(0)
	v_mul_f64 v[146:147], v[10:11], v[18:19]
	v_fmac_f64_e32 v[146:147], v[8:9], v[16:17]
	v_mul_f64 v[8:9], v[8:9], v[18:19]
	v_fma_f64 v[148:149], v[10:11], v[16:17], -v[8:9]
	v_add_f64 v[8:9], v[4:5], v[84:85]
	v_add_f64 v[68:69], v[8:9], v[88:89]
	;; [unrolled: 1-line block ×4, first 2 shown]
	v_mul_u32_u24_e32 v8, 0x1e0, v154
	v_mov_b32_e32 v154, 4
	v_lshlrev_b32_sdwa v9, v154, v162 dst_sel:DWORD dst_unused:UNUSED_PAD src0_sel:DWORD src1_sel:BYTE_0
	v_add3_u32 v162, 0, v8, v9
	ds_read_b128 v[28:31], v129
	ds_read_b128 v[24:27], v123
	;; [unrolled: 1-line block ×6, first 2 shown]
	s_waitcnt lgkmcnt(0)
	s_barrier
	ds_write_b128 v162, v[68:71]
	v_add_f64 v[68:69], v[84:85], v[88:89]
	v_fmac_f64_e32 v[4:5], -0.5, v[68:69]
	v_add_f64 v[68:69], v[86:87], -v[66:67]
	v_add_f64 v[66:67], v[86:87], v[66:67]
	s_mov_b32 s10, s4
	v_fmac_f64_e32 v[6:7], -0.5, v[66:67]
	v_add_f64 v[66:67], v[84:85], -v[88:89]
	v_fma_f64 v[178:179], s[10:11], v[66:67], v[6:7]
	v_fmac_f64_e32 v[6:7], s[4:5], v[66:67]
	v_add_f64 v[66:67], v[0:1], v[64:65]
	v_add_f64 v[180:181], v[66:67], v[102:103]
	;; [unrolled: 1-line block ×5, first 2 shown]
	v_fma_f64 v[176:177], s[4:5], v[68:69], v[4:5]
	v_fmac_f64_e32 v[4:5], s[10:11], v[68:69]
	v_add_f64 v[68:69], v[64:65], v[102:103]
	v_fmac_f64_e32 v[2:3], -0.5, v[66:67]
	v_add_f64 v[64:65], v[64:65], -v[102:103]
	v_fma_f64 v[86:87], s[10:11], v[64:65], v[2:3]
	v_fmac_f64_e32 v[2:3], s[4:5], v[64:65]
	v_add_f64 v[64:65], v[40:41], v[62:63]
	v_add_f64 v[184:185], v[64:65], v[100:101]
	v_add_f64 v[64:65], v[42:43], v[98:99]
	v_add_f64 v[186:187], v[64:65], v[110:111]
	v_add_f64 v[64:65], v[98:99], v[110:111]
	v_add_f64 v[66:67], v[62:63], v[100:101]
	v_fmac_f64_e32 v[42:43], -0.5, v[64:65]
	v_add_f64 v[62:63], v[62:63], -v[100:101]
	v_fmac_f64_e32 v[40:41], -0.5, v[66:67]
	v_add_f64 v[66:67], v[98:99], -v[110:111]
	v_fma_f64 v[98:99], s[10:11], v[62:63], v[42:43]
	v_fmac_f64_e32 v[42:43], s[4:5], v[62:63]
	v_add_f64 v[62:63], v[36:37], v[60:61]
	v_add_f64 v[100:101], v[62:63], v[92:93]
	v_add_f64 v[62:63], v[38:39], v[90:91]
	v_add_f64 v[102:103], v[62:63], v[104:105]
	v_add_f64 v[62:63], v[90:91], v[104:105]
	v_add_f64 v[64:65], v[60:61], v[92:93]
	v_fmac_f64_e32 v[38:39], -0.5, v[62:63]
	v_add_f64 v[60:61], v[60:61], -v[92:93]
	v_fmac_f64_e32 v[36:37], -0.5, v[64:65]
	v_add_f64 v[64:65], v[90:91], -v[104:105]
	v_fma_f64 v[90:91], s[10:11], v[60:61], v[38:39]
	v_fmac_f64_e32 v[38:39], s[4:5], v[60:61]
	v_add_f64 v[60:61], v[28:29], v[32:33]
	v_add_f64 v[188:189], v[60:61], v[106:107]
	v_add_f64 v[60:61], v[30:31], v[94:95]
	v_add_f64 v[190:191], v[60:61], v[118:119]
	v_add_f64 v[60:61], v[94:95], v[118:119]
	v_add_f64 v[62:63], v[32:33], v[106:107]
	v_fmac_f64_e32 v[30:31], -0.5, v[60:61]
	v_add_f64 v[32:33], v[32:33], -v[106:107]
	v_fmac_f64_e32 v[28:29], -0.5, v[62:63]
	v_add_f64 v[62:63], v[94:95], -v[118:119]
	v_fma_f64 v[94:95], s[10:11], v[32:33], v[30:31]
	v_fmac_f64_e32 v[30:31], s[4:5], v[32:33]
	v_add_f64 v[32:33], v[24:25], v[34:35]
	v_add_f64 v[76:77], v[32:33], v[56:57]
	;; [unrolled: 1-line block ×5, first 2 shown]
	v_fmac_f64_e32 v[26:27], -0.5, v[32:33]
	v_add_f64 v[32:33], v[34:35], -v[56:57]
	v_fmac_f64_e32 v[0:1], -0.5, v[68:69]
	v_add_f64 v[68:69], v[96:97], -v[116:117]
	v_fma_f64 v[74:75], s[10:11], v[32:33], v[26:27]
	v_fmac_f64_e32 v[26:27], s[4:5], v[32:33]
	v_add_f64 v[32:33], v[20:21], v[44:45]
	v_fma_f64 v[84:85], s[4:5], v[68:69], v[0:1]
	v_fmac_f64_e32 v[0:1], s[10:11], v[68:69]
	v_add_f64 v[68:69], v[32:33], v[112:113]
	v_add_f64 v[32:33], v[22:23], v[58:59]
	;; [unrolled: 1-line block ×5, first 2 shown]
	v_fmac_f64_e32 v[22:23], -0.5, v[32:33]
	v_add_f64 v[32:33], v[44:45], -v[112:113]
	v_fma_f64 v[96:97], s[4:5], v[66:67], v[40:41]
	v_fmac_f64_e32 v[40:41], s[10:11], v[66:67]
	v_fmac_f64_e32 v[24:25], -0.5, v[60:61]
	v_add_f64 v[60:61], v[50:51], -v[108:109]
	v_fma_f64 v[66:67], s[10:11], v[32:33], v[22:23]
	v_fmac_f64_e32 v[22:23], s[4:5], v[32:33]
	v_add_f64 v[32:33], v[16:17], v[46:47]
	v_fma_f64 v[72:73], s[4:5], v[60:61], v[24:25]
	v_fmac_f64_e32 v[24:25], s[10:11], v[60:61]
	v_add_f64 v[60:61], v[32:33], v[54:55]
	v_add_f64 v[32:33], v[18:19], v[52:53]
	v_fma_f64 v[92:93], s[4:5], v[62:63], v[28:29]
	v_fmac_f64_e32 v[28:29], s[10:11], v[62:63]
	v_add_f64 v[34:35], v[44:45], v[112:113]
	v_add_f64 v[62:63], v[32:33], v[82:83]
	;; [unrolled: 1-line block ×3, first 2 shown]
	v_fmac_f64_e32 v[20:21], -0.5, v[34:35]
	v_add_f64 v[34:35], v[58:59], -v[140:141]
	v_fmac_f64_e32 v[18:19], -0.5, v[32:33]
	v_add_f64 v[32:33], v[46:47], -v[54:55]
	v_fma_f64 v[88:89], s[4:5], v[64:65], v[36:37]
	v_fmac_f64_e32 v[36:37], s[10:11], v[64:65]
	v_fma_f64 v[64:65], s[4:5], v[34:35], v[20:21]
	v_fmac_f64_e32 v[20:21], s[10:11], v[34:35]
	v_add_f64 v[34:35], v[46:47], v[54:55]
	v_fma_f64 v[58:59], s[10:11], v[32:33], v[18:19]
	v_fmac_f64_e32 v[18:19], s[4:5], v[32:33]
	v_add_f64 v[32:33], v[12:13], v[48:49]
	v_fmac_f64_e32 v[16:17], -0.5, v[34:35]
	v_add_f64 v[34:35], v[52:53], -v[82:83]
	v_add_f64 v[52:53], v[32:33], v[114:115]
	v_add_f64 v[32:33], v[14:15], v[80:81]
	;; [unrolled: 1-line block ×4, first 2 shown]
	v_fma_f64 v[56:57], s[4:5], v[34:35], v[16:17]
	v_fmac_f64_e32 v[16:17], s[10:11], v[34:35]
	v_add_f64 v[34:35], v[48:49], v[114:115]
	v_fmac_f64_e32 v[14:15], -0.5, v[32:33]
	v_add_f64 v[32:33], v[48:49], -v[114:115]
	v_fmac_f64_e32 v[12:13], -0.5, v[34:35]
	v_add_f64 v[34:35], v[80:81], -v[142:143]
	v_fma_f64 v[46:47], s[10:11], v[32:33], v[14:15]
	v_fmac_f64_e32 v[14:15], s[4:5], v[32:33]
	v_add_f64 v[32:33], v[138:139], v[146:147]
	v_fma_f64 v[44:45], s[4:5], v[34:35], v[12:13]
	v_fmac_f64_e32 v[12:13], s[10:11], v[34:35]
	v_add_f64 v[34:35], v[8:9], v[138:139]
	v_fmac_f64_e32 v[8:9], -0.5, v[32:33]
	v_add_f64 v[48:49], v[144:145], -v[148:149]
	v_fma_f64 v[32:33], s[4:5], v[48:49], v[8:9]
	v_fmac_f64_e32 v[8:9], s[10:11], v[48:49]
	v_add_f64 v[48:49], v[34:35], v[146:147]
	v_add_f64 v[34:35], v[10:11], v[144:145]
	;; [unrolled: 1-line block ×4, first 2 shown]
	v_fmac_f64_e32 v[10:11], -0.5, v[34:35]
	v_mul_u32_u24_e32 v34, 0x1e0, v156
	v_lshlrev_b32_sdwa v35, v154, v157 dst_sel:DWORD dst_unused:UNUSED_PAD src0_sel:DWORD src1_sel:BYTE_0
	v_add3_u32 v82, 0, v34, v35
	v_mul_u32_u24_e32 v34, 0x1e0, v158
	v_lshlrev_b32_sdwa v35, v154, v159 dst_sel:DWORD dst_unused:UNUSED_PAD src0_sel:DWORD src1_sel:BYTE_0
	v_add3_u32 v83, 0, v34, v35
	v_mul_u32_u24_e32 v34, 0x1e0, v160
	v_lshlrev_b32_e32 v35, 4, v161
	v_add3_u32 v104, 0, v34, v35
	v_perm_b32 v34, v166, v164, s12
	v_pk_mul_lo_u16 v34, v34, s13 op_sel_hi:[1,0]
	v_lshlrev_b32_e32 v35, 4, v163
	v_and_b32_e32 v105, 0xffe0, v34
	v_add3_u32 v105, 0, v105, v35
	v_lshrrev_b32_e32 v34, 16, v34
	v_lshlrev_b32_e32 v35, 4, v165
	v_add3_u32 v106, 0, v34, v35
	v_perm_b32 v34, v174, v171, s12
	v_pk_mul_lo_u16 v34, v34, s13 op_sel_hi:[1,0]
	v_lshlrev_b32_e32 v35, 4, v172
	v_and_b32_e32 v107, 0xffe0, v34
	v_add3_u32 v107, 0, v107, v35
	v_lshrrev_b32_e32 v34, 16, v34
	v_lshlrev_b32_e32 v35, 4, v173
	v_add3_u32 v108, 0, v34, v35
	ds_write_b128 v162, v[176:179] offset:160
	ds_write_b128 v162, v[4:7] offset:320
	ds_write_b128 v82, v[180:183]
	ds_write_b128 v82, v[84:87] offset:160
	ds_write_b128 v82, v[0:3] offset:320
	ds_write_b128 v83, v[184:187]
	;; [unrolled: 3-line block ×7, first 2 shown]
	ds_write_b128 v108, v[56:59] offset:160
	ds_write_b128 v108, v[16:19] offset:320
	v_perm_b32 v0, v170, v168, s12
	v_pk_mul_lo_u16 v0, v0, s13 op_sel_hi:[1,0]
	v_lshlrev_b32_e32 v2, 4, v167
	v_and_b32_e32 v1, 0xffe0, v0
	v_add3_u32 v1, 0, v1, v2
	ds_write_b128 v1, v[52:55]
	ds_write_b128 v1, v[44:47] offset:160
	ds_write_b128 v1, v[12:15] offset:320
	v_lshrrev_b32_e32 v0, 16, v0
	v_lshlrev_b32_e32 v1, 4, v169
	v_add_f64 v[80:81], v[138:139], -v[146:147]
	v_add3_u32 v0, 0, v0, v1
	s_movk_i32 s13, 0x89
	v_fma_f64 v[34:35], s[10:11], v[80:81], v[10:11]
	v_fmac_f64_e32 v[10:11], s[4:5], v[80:81]
	ds_write_b128 v0, v[48:51]
	ds_write_b128 v0, v[32:35] offset:160
	ds_write_b128 v0, v[8:11] offset:320
	v_mul_lo_u16_sdwa v0, v122, s13 dst_sel:DWORD dst_unused:UNUSED_PAD src0_sel:BYTE_0 src1_sel:DWORD
	v_lshrrev_b16_e32 v166, 12, v0
	v_mul_lo_u16_e32 v0, 30, v166
	v_sub_u16_e32 v167, v122, v0
	v_lshlrev_b32_sdwa v0, v155, v167 dst_sel:DWORD dst_unused:UNUSED_PAD src0_sel:DWORD src1_sel:BYTE_0
	s_waitcnt lgkmcnt(0)
	s_barrier
	global_load_dwordx4 v[28:31], v0, s[8:9] offset:320
	global_load_dwordx4 v[16:19], v0, s[8:9] offset:336
	v_mul_lo_u16_sdwa v0, v153, s13 dst_sel:DWORD dst_unused:UNUSED_PAD src0_sel:BYTE_0 src1_sel:DWORD
	v_lshrrev_b16_e32 v142, 12, v0
	v_mul_lo_u16_e32 v0, 30, v142
	v_sub_u16_e32 v143, v153, v0
	v_lshlrev_b32_sdwa v0, v155, v143 dst_sel:DWORD dst_unused:UNUSED_PAD src0_sel:DWORD src1_sel:BYTE_0
	global_load_dwordx4 v[12:15], v0, s[8:9] offset:320
	global_load_dwordx4 v[8:11], v0, s[8:9] offset:336
	v_mul_lo_u16_sdwa v0, v152, s13 dst_sel:DWORD dst_unused:UNUSED_PAD src0_sel:BYTE_0 src1_sel:DWORD
	v_lshrrev_b16_e32 v144, 12, v0
	v_mul_lo_u16_e32 v0, 30, v144
	v_sub_u16_e32 v145, v152, v0
	v_lshlrev_b32_sdwa v0, v155, v145 dst_sel:DWORD dst_unused:UNUSED_PAD src0_sel:DWORD src1_sel:BYTE_0
	s_mov_b32 s13, 0x8889
	global_load_dwordx4 v[24:27], v0, s[8:9] offset:320
	global_load_dwordx4 v[20:23], v0, s[8:9] offset:336
	v_mul_u32_u24_sdwa v0, v151, s13 dst_sel:DWORD dst_unused:UNUSED_PAD src0_sel:WORD_0 src1_sel:DWORD
	v_lshrrev_b32_e32 v146, 20, v0
	v_mul_lo_u16_e32 v0, 30, v146
	v_sub_u16_e32 v147, v151, v0
	v_lshlrev_b32_e32 v0, 5, v147
	global_load_dwordx4 v[36:39], v0, s[8:9] offset:320
	global_load_dwordx4 v[32:35], v0, s[8:9] offset:336
	v_mul_u32_u24_sdwa v0, v126, s13 dst_sel:DWORD dst_unused:UNUSED_PAD src0_sel:WORD_0 src1_sel:DWORD
	v_lshrrev_b32_e32 v148, 20, v0
	v_mul_lo_u16_e32 v0, 30, v148
	v_sub_u16_e32 v149, v126, v0
	v_lshlrev_b32_e32 v40, 5, v149
	global_load_dwordx4 v[44:47], v40, s[8:9] offset:320
	v_mul_u32_u24_sdwa v48, v128, s13 dst_sel:DWORD dst_unused:UNUSED_PAD src0_sel:WORD_0 src1_sel:DWORD
	v_lshrrev_b32_e32 v156, 20, v48
	v_mul_lo_u16_e32 v48, 30, v156
	v_sub_u16_e32 v157, v128, v48
	v_lshlrev_b32_e32 v48, 5, v157
	ds_read_b128 v[4:7], v150
	ds_read_b128 v[0:3], v150 offset:1296
	ds_read_b128 v[50:53], v150 offset:12960
	ds_read_b128 v[58:61], v150 offset:14256
	ds_read_b128 v[54:57], v150 offset:25920
	ds_read_b128 v[68:71], v150 offset:27216
	global_load_dwordx4 v[40:43], v40, s[8:9] offset:336
	ds_read_b128 v[72:75], v150 offset:15552
	global_load_dwordx4 v[76:79], v48, s[8:9] offset:320
	global_load_dwordx4 v[86:89], v48, s[8:9] offset:336
	v_mul_u32_u24_sdwa v48, v132, s13 dst_sel:DWORD dst_unused:UNUSED_PAD src0_sel:WORD_0 src1_sel:DWORD
	v_lshrrev_b32_e32 v160, 20, v48
	v_mul_lo_u16_e32 v48, 30, v160
	v_sub_u16_e32 v161, v132, v48
	v_lshlrev_b32_e32 v62, 5, v161
	global_load_dwordx4 v[106:109], v62, s[8:9] offset:320
	global_load_dwordx4 v[112:115], v62, s[8:9] offset:336
	s_waitcnt vmcnt(13) lgkmcnt(4)
	v_mul_f64 v[48:49], v[52:53], v[30:31]
	v_fmac_f64_e32 v[48:49], v[50:51], v[28:29]
	v_mul_f64 v[30:31], v[50:51], v[30:31]
	v_mul_u32_u24_sdwa v50, v130, s13 dst_sel:DWORD dst_unused:UNUSED_PAD src0_sel:WORD_0 src1_sel:DWORD
	v_lshrrev_b32_e32 v162, 20, v50
	v_mul_lo_u16_e32 v50, 30, v162
	v_sub_u16_e32 v163, v130, v50
	v_lshlrev_b32_e32 v62, 5, v163
	v_fma_f64 v[52:53], v[52:53], v[28:29], -v[30:31]
	global_load_dwordx4 v[28:31], v62, s[8:9] offset:320
	global_load_dwordx4 v[116:119], v62, s[8:9] offset:336
	v_mul_u32_u24_sdwa v62, v136, s13 dst_sel:DWORD dst_unused:UNUSED_PAD src0_sel:WORD_0 src1_sel:DWORD
	v_lshrrev_b32_e32 v158, 20, v62
	v_mul_lo_u16_e32 v62, 30, v158
	v_sub_u16_e32 v159, v136, v62
	s_waitcnt vmcnt(14) lgkmcnt(2)
	v_mul_f64 v[50:51], v[56:57], v[18:19]
	v_lshlrev_b32_e32 v62, 5, v159
	v_mul_f64 v[18:19], v[54:55], v[18:19]
	v_fmac_f64_e32 v[50:51], v[54:55], v[16:17]
	v_fma_f64 v[56:57], v[56:57], v[16:17], -v[18:19]
	global_load_dwordx4 v[16:19], v62, s[8:9] offset:320
	global_load_dwordx4 v[138:141], v62, s[8:9] offset:336
	v_mul_u32_u24_sdwa v62, v134, s13 dst_sel:DWORD dst_unused:UNUSED_PAD src0_sel:WORD_0 src1_sel:DWORD
	v_lshrrev_b32_e32 v164, 20, v62
	v_mul_lo_u16_e32 v62, 30, v164
	v_sub_u16_e32 v165, v134, v62
	v_lshlrev_b32_e32 v64, 5, v165
	global_load_dwordx4 v[168:171], v64, s[8:9] offset:320
	global_load_dwordx4 v[172:175], v64, s[8:9] offset:336
	s_waitcnt vmcnt(17)
	v_mul_f64 v[54:55], v[60:61], v[14:15]
	v_mul_f64 v[14:15], v[58:59], v[14:15]
	s_waitcnt vmcnt(16) lgkmcnt(1)
	v_mul_f64 v[62:63], v[70:71], v[10:11]
	v_mul_f64 v[10:11], v[68:69], v[10:11]
	v_fmac_f64_e32 v[54:55], v[58:59], v[12:13]
	v_fma_f64 v[66:67], v[60:61], v[12:13], -v[14:15]
	v_fmac_f64_e32 v[62:63], v[68:69], v[8:9]
	v_fma_f64 v[82:83], v[70:71], v[8:9], -v[10:11]
	ds_read_b128 v[12:15], v150 offset:2592
	ds_read_b128 v[8:11], v150 offset:3888
	;; [unrolled: 1-line block ×4, first 2 shown]
	s_waitcnt vmcnt(15) lgkmcnt(4)
	v_mul_f64 v[58:59], v[74:75], v[26:27]
	v_mul_f64 v[26:27], v[72:73], v[26:27]
	v_fmac_f64_e32 v[58:59], v[72:73], v[24:25]
	v_fma_f64 v[74:75], v[74:75], v[24:25], -v[26:27]
	ds_read_b128 v[24:27], v150 offset:29808
	s_waitcnt vmcnt(14) lgkmcnt(1)
	v_mul_f64 v[90:91], v[94:95], v[22:23]
	v_mul_f64 v[22:23], v[92:93], v[22:23]
	v_fmac_f64_e32 v[90:91], v[92:93], v[20:21]
	v_fma_f64 v[104:105], v[94:95], v[20:21], -v[22:23]
	s_waitcnt vmcnt(13)
	v_mul_f64 v[20:21], v[68:69], v[38:39]
	v_mul_f64 v[60:61], v[70:71], v[38:39]
	v_fma_f64 v[70:71], v[70:71], v[36:37], -v[20:21]
	ds_read_b128 v[20:23], v150 offset:18144
	s_waitcnt vmcnt(12) lgkmcnt(1)
	v_mul_f64 v[72:73], v[26:27], v[34:35]
	v_fmac_f64_e32 v[72:73], v[24:25], v[32:33]
	v_mul_f64 v[24:25], v[24:25], v[34:35]
	v_fma_f64 v[94:95], v[26:27], v[32:33], -v[24:25]
	ds_read_b128 v[24:27], v150 offset:19440
	s_waitcnt vmcnt(11) lgkmcnt(1)
	v_mul_f64 v[64:65], v[22:23], v[46:47]
	v_fmac_f64_e32 v[64:65], v[20:21], v[44:45]
	v_mul_f64 v[20:21], v[20:21], v[46:47]
	ds_read_b128 v[32:35], v150 offset:31104
	v_fma_f64 v[84:85], v[22:23], v[44:45], -v[20:21]
	ds_read_b128 v[20:23], v150 offset:32400
	s_waitcnt vmcnt(9) lgkmcnt(2)
	v_mul_f64 v[44:45], v[26:27], v[78:79]
	v_fmac_f64_e32 v[44:45], v[24:25], v[76:77]
	v_mul_f64 v[24:25], v[24:25], v[78:79]
	v_fma_f64 v[78:79], v[26:27], v[76:77], -v[24:25]
	s_waitcnt vmcnt(8) lgkmcnt(0)
	v_mul_f64 v[80:81], v[22:23], v[88:89]
	ds_read_b128 v[24:27], v150 offset:20736
	v_fmac_f64_e32 v[80:81], v[20:21], v[86:87]
	v_mul_f64 v[20:21], v[20:21], v[88:89]
	v_fma_f64 v[100:101], v[22:23], v[86:87], -v[20:21]
	ds_read_b128 v[20:23], v150 offset:22032
	v_mul_f64 v[96:97], v[34:35], v[42:43]
	s_waitcnt vmcnt(7) lgkmcnt(1)
	v_mul_f64 v[46:47], v[26:27], v[108:109]
	v_fmac_f64_e32 v[96:97], v[32:33], v[40:41]
	v_mul_f64 v[32:33], v[32:33], v[42:43]
	v_fmac_f64_e32 v[46:47], v[24:25], v[106:107]
	;; [unrolled: 2-line block ×3, first 2 shown]
	v_fma_f64 v[110:111], v[34:35], v[40:41], -v[32:33]
	ds_read_b128 v[32:35], v150 offset:33696
	v_fma_f64 v[92:93], v[26:27], v[106:107], -v[24:25]
	ds_read_b128 v[24:27], v150 offset:34992
	s_movk_i32 s13, 0xb7
	s_waitcnt vmcnt(6) lgkmcnt(1)
	v_mul_f64 v[102:103], v[34:35], v[114:115]
	v_fmac_f64_e32 v[102:103], v[32:33], v[112:113]
	v_mul_f64 v[32:33], v[32:33], v[114:115]
	s_waitcnt vmcnt(5)
	v_mul_f64 v[68:69], v[22:23], v[30:31]
	v_fmac_f64_e32 v[68:69], v[20:21], v[28:29]
	v_mul_f64 v[20:21], v[20:21], v[30:31]
	v_fma_f64 v[86:87], v[22:23], v[28:29], -v[20:21]
	ds_read_b128 v[20:23], v150 offset:23328
	s_waitcnt vmcnt(4) lgkmcnt(1)
	v_mul_f64 v[88:89], v[26:27], v[118:119]
	v_fmac_f64_e32 v[88:89], v[24:25], v[116:117]
	v_mul_f64 v[24:25], v[24:25], v[118:119]
	ds_read_b128 v[28:31], v150 offset:36288
	v_fma_f64 v[106:107], v[26:27], v[116:117], -v[24:25]
	ds_read_b128 v[24:27], v150 offset:24624
	s_waitcnt vmcnt(3) lgkmcnt(2)
	v_mul_f64 v[76:77], v[22:23], v[18:19]
	v_mul_f64 v[18:19], v[20:21], v[18:19]
	v_fmac_f64_e32 v[76:77], v[20:21], v[16:17]
	v_fma_f64 v[98:99], v[22:23], v[16:17], -v[18:19]
	ds_read_b128 v[16:19], v150 offset:37584
	s_waitcnt vmcnt(2) lgkmcnt(2)
	v_mul_f64 v[20:21], v[28:29], v[140:141]
	v_fma_f64 v[114:115], v[34:35], v[112:113], -v[32:33]
	v_mul_f64 v[108:109], v[30:31], v[140:141]
	v_fma_f64 v[116:117], v[30:31], v[138:139], -v[20:21]
	s_waitcnt vmcnt(1) lgkmcnt(1)
	v_mul_f64 v[112:113], v[26:27], v[170:171]
	v_mul_f64 v[20:21], v[24:25], v[170:171]
	v_fmac_f64_e32 v[108:109], v[28:29], v[138:139]
	v_fmac_f64_e32 v[112:113], v[24:25], v[168:169]
	v_fma_f64 v[118:119], v[26:27], v[168:169], -v[20:21]
	s_waitcnt vmcnt(0) lgkmcnt(0)
	v_mul_f64 v[138:139], v[18:19], v[174:175]
	v_add_f64 v[24:25], v[4:5], v[48:49]
	v_add_f64 v[26:27], v[6:7], v[52:53]
	v_mul_u32_u24_e32 v28, 0x5a0, v166
	v_lshlrev_b32_sdwa v29, v154, v167 dst_sel:DWORD dst_unused:UNUSED_PAD src0_sel:DWORD src1_sel:BYTE_0
	v_fmac_f64_e32 v[138:139], v[16:17], v[172:173]
	v_mul_f64 v[16:17], v[16:17], v[174:175]
	v_add_f64 v[24:25], v[24:25], v[50:51]
	v_add_f64 v[26:27], v[26:27], v[56:57]
	v_add3_u32 v190, 0, v28, v29
	v_fma_f64 v[140:141], v[18:19], v[172:173], -v[16:17]
	ds_read_b128 v[20:23], v129
	ds_read_b128 v[16:19], v123
	;; [unrolled: 1-line block ×6, first 2 shown]
	s_waitcnt lgkmcnt(0)
	s_barrier
	ds_write_b128 v190, v[24:27]
	v_add_f64 v[24:25], v[48:49], v[50:51]
	v_fmac_f64_e32 v[4:5], -0.5, v[24:25]
	v_add_f64 v[24:25], v[52:53], v[56:57]
	v_add_f64 v[166:167], v[52:53], -v[56:57]
	v_fmac_f64_e32 v[6:7], -0.5, v[24:25]
	v_add_f64 v[48:49], v[48:49], -v[50:51]
	v_fma_f64 v[24:25], s[4:5], v[166:167], v[4:5]
	v_fma_f64 v[26:27], s[10:11], v[48:49], v[6:7]
	ds_write_b128 v190, v[24:27] offset:480
	v_add_f64 v[24:25], v[0:1], v[54:55]
	v_add_f64 v[170:171], v[24:25], v[62:63]
	v_add_f64 v[24:25], v[2:3], v[66:67]
	v_add_f64 v[172:173], v[24:25], v[82:83]
	v_add_f64 v[24:25], v[66:67], v[82:83]
	v_fmac_f64_e32 v[2:3], -0.5, v[24:25]
	v_add_f64 v[24:25], v[54:55], -v[62:63]
	v_fma_f64 v[168:169], s[10:11], v[24:25], v[2:3]
	v_fmac_f64_e32 v[2:3], s[4:5], v[24:25]
	v_add_f64 v[24:25], v[12:13], v[58:59]
	v_add_f64 v[178:179], v[24:25], v[90:91]
	v_add_f64 v[24:25], v[14:15], v[74:75]
	v_add_f64 v[180:181], v[24:25], v[104:105]
	v_add_f64 v[24:25], v[74:75], v[104:105]
	v_fmac_f64_e32 v[14:15], -0.5, v[24:25]
	v_add_f64 v[24:25], v[58:59], -v[90:91]
	v_add_f64 v[26:27], v[54:55], v[62:63]
	v_fma_f64 v[176:177], s[10:11], v[24:25], v[14:15]
	v_fmac_f64_e32 v[14:15], s[4:5], v[24:25]
	v_add_f64 v[24:25], v[8:9], v[60:61]
	v_fmac_f64_e32 v[0:1], -0.5, v[26:27]
	v_add_f64 v[26:27], v[66:67], -v[82:83]
	v_add_f64 v[186:187], v[24:25], v[72:73]
	v_add_f64 v[24:25], v[10:11], v[70:71]
	v_fmac_f64_e32 v[4:5], s[10:11], v[166:167]
	v_fma_f64 v[166:167], s[4:5], v[26:27], v[0:1]
	v_fmac_f64_e32 v[0:1], s[10:11], v[26:27]
	v_add_f64 v[26:27], v[58:59], v[90:91]
	v_add_f64 v[188:189], v[24:25], v[94:95]
	;; [unrolled: 1-line block ×3, first 2 shown]
	v_fmac_f64_e32 v[12:13], -0.5, v[26:27]
	v_add_f64 v[26:27], v[74:75], -v[104:105]
	v_fmac_f64_e32 v[10:11], -0.5, v[24:25]
	v_add_f64 v[24:25], v[60:61], -v[72:73]
	v_fma_f64 v[174:175], s[4:5], v[26:27], v[12:13]
	v_fmac_f64_e32 v[12:13], s[10:11], v[26:27]
	v_add_f64 v[26:27], v[60:61], v[72:73]
	v_fma_f64 v[184:185], s[10:11], v[24:25], v[10:11]
	v_fmac_f64_e32 v[10:11], s[4:5], v[24:25]
	v_add_f64 v[24:25], v[20:21], v[64:65]
	v_fmac_f64_e32 v[8:9], -0.5, v[26:27]
	v_add_f64 v[26:27], v[70:71], -v[94:95]
	v_add_f64 v[70:71], v[24:25], v[96:97]
	v_add_f64 v[24:25], v[22:23], v[84:85]
	;; [unrolled: 1-line block ×4, first 2 shown]
	v_fmac_f64_e32 v[22:23], -0.5, v[24:25]
	v_add_f64 v[24:25], v[64:65], -v[96:97]
	v_fma_f64 v[62:63], s[10:11], v[24:25], v[22:23]
	v_fmac_f64_e32 v[22:23], s[4:5], v[24:25]
	v_add_f64 v[24:25], v[16:17], v[44:45]
	v_fma_f64 v[182:183], s[4:5], v[26:27], v[8:9]
	v_fmac_f64_e32 v[8:9], s[10:11], v[26:27]
	v_add_f64 v[26:27], v[64:65], v[96:97]
	v_add_f64 v[82:83], v[24:25], v[80:81]
	;; [unrolled: 1-line block ×3, first 2 shown]
	v_fmac_f64_e32 v[20:21], -0.5, v[26:27]
	v_add_f64 v[26:27], v[84:85], -v[110:111]
	v_add_f64 v[84:85], v[24:25], v[100:101]
	v_add_f64 v[24:25], v[78:79], v[100:101]
	v_fmac_f64_e32 v[6:7], s[4:5], v[48:49]
	v_fmac_f64_e32 v[18:19], -0.5, v[24:25]
	v_add_f64 v[24:25], v[44:45], -v[80:81]
	v_fma_f64 v[66:67], s[10:11], v[24:25], v[18:19]
	v_fmac_f64_e32 v[18:19], s[4:5], v[24:25]
	v_add_f64 v[24:25], v[40:41], v[46:47]
	ds_write_b128 v190, v[4:7] offset:960
	v_mul_u32_u24_e32 v4, 0x5a0, v142
	v_lshlrev_b32_sdwa v5, v154, v143 dst_sel:DWORD dst_unused:UNUSED_PAD src0_sel:DWORD src1_sel:BYTE_0
	v_add_f64 v[94:95], v[24:25], v[102:103]
	v_add_f64 v[24:25], v[42:43], v[92:93]
	v_add3_u32 v4, 0, v4, v5
	v_add_f64 v[96:97], v[24:25], v[114:115]
	v_add_f64 v[24:25], v[92:93], v[114:115]
	ds_write_b128 v4, v[170:173]
	ds_write_b128 v4, v[166:169] offset:480
	ds_write_b128 v4, v[0:3] offset:960
	v_mul_u32_u24_e32 v0, 0x5a0, v144
	v_lshlrev_b32_sdwa v1, v154, v145 dst_sel:DWORD dst_unused:UNUSED_PAD src0_sel:DWORD src1_sel:BYTE_0
	v_fma_f64 v[60:61], s[4:5], v[26:27], v[20:21]
	v_fmac_f64_e32 v[20:21], s[10:11], v[26:27]
	v_add_f64 v[26:27], v[44:45], v[80:81]
	v_fmac_f64_e32 v[42:43], -0.5, v[24:25]
	v_add_f64 v[24:25], v[46:47], -v[102:103]
	v_add3_u32 v0, 0, v0, v1
	v_fmac_f64_e32 v[16:17], -0.5, v[26:27]
	v_add_f64 v[26:27], v[78:79], -v[100:101]
	v_fma_f64 v[80:81], s[10:11], v[24:25], v[42:43]
	v_fmac_f64_e32 v[42:43], s[4:5], v[24:25]
	v_add_f64 v[24:25], v[36:37], v[68:69]
	ds_write_b128 v0, v[178:181]
	ds_write_b128 v0, v[174:177] offset:480
	ds_write_b128 v0, v[12:15] offset:960
	v_mul_u32_u24_e32 v0, 0x5a0, v146
	v_lshlrev_b32_e32 v1, 4, v147
	v_fma_f64 v[64:65], s[4:5], v[26:27], v[16:17]
	v_fmac_f64_e32 v[16:17], s[10:11], v[26:27]
	v_add_f64 v[26:27], v[46:47], v[102:103]
	v_add_f64 v[90:91], v[24:25], v[88:89]
	;; [unrolled: 1-line block ×3, first 2 shown]
	v_add3_u32 v0, 0, v0, v1
	v_fmac_f64_e32 v[40:41], -0.5, v[26:27]
	v_add_f64 v[26:27], v[92:93], -v[114:115]
	v_add_f64 v[92:93], v[24:25], v[106:107]
	v_add_f64 v[24:25], v[86:87], v[106:107]
	ds_write_b128 v0, v[186:189]
	ds_write_b128 v0, v[182:185] offset:480
	ds_write_b128 v0, v[8:11] offset:960
	v_mul_u32_u24_e32 v0, 0x5a0, v148
	v_lshlrev_b32_e32 v1, 4, v149
	v_fmac_f64_e32 v[38:39], -0.5, v[24:25]
	v_add_f64 v[24:25], v[68:69], -v[88:89]
	v_add3_u32 v0, 0, v0, v1
	v_fma_f64 v[58:59], s[10:11], v[24:25], v[38:39]
	v_fmac_f64_e32 v[38:39], s[4:5], v[24:25]
	v_add_f64 v[24:25], v[32:33], v[76:77]
	ds_write_b128 v0, v[70:73]
	ds_write_b128 v0, v[60:63] offset:480
	ds_write_b128 v0, v[20:23] offset:960
	v_mul_u32_u24_e32 v0, 0x5a0, v156
	v_lshlrev_b32_e32 v1, 4, v157
	v_fma_f64 v[78:79], s[4:5], v[26:27], v[40:41]
	v_fmac_f64_e32 v[40:41], s[10:11], v[26:27]
	v_add_f64 v[26:27], v[68:69], v[88:89]
	v_add_f64 v[52:53], v[24:25], v[108:109]
	;; [unrolled: 1-line block ×3, first 2 shown]
	v_add3_u32 v0, 0, v0, v1
	v_fmac_f64_e32 v[36:37], -0.5, v[26:27]
	v_add_f64 v[26:27], v[86:87], -v[106:107]
	v_add_f64 v[54:55], v[24:25], v[116:117]
	v_add_f64 v[24:25], v[98:99], v[116:117]
	ds_write_b128 v0, v[82:85]
	ds_write_b128 v0, v[64:67] offset:480
	ds_write_b128 v0, v[16:19] offset:960
	v_mul_u32_u24_e32 v0, 0x5a0, v160
	v_lshlrev_b32_e32 v1, 4, v161
	v_fma_f64 v[56:57], s[4:5], v[26:27], v[36:37]
	v_fmac_f64_e32 v[36:37], s[10:11], v[26:27]
	v_add_f64 v[26:27], v[76:77], v[108:109]
	v_fmac_f64_e32 v[34:35], -0.5, v[24:25]
	v_add_f64 v[24:25], v[76:77], -v[108:109]
	v_add3_u32 v0, 0, v0, v1
	v_fmac_f64_e32 v[32:33], -0.5, v[26:27]
	v_add_f64 v[26:27], v[98:99], -v[116:117]
	v_fma_f64 v[46:47], s[10:11], v[24:25], v[34:35]
	v_fmac_f64_e32 v[34:35], s[4:5], v[24:25]
	v_add_f64 v[24:25], v[112:113], v[138:139]
	ds_write_b128 v0, v[94:97]
	ds_write_b128 v0, v[78:81] offset:480
	ds_write_b128 v0, v[40:43] offset:960
	v_mul_u32_u24_e32 v0, 0x5a0, v162
	v_lshlrev_b32_e32 v1, 4, v163
	v_fma_f64 v[44:45], s[4:5], v[26:27], v[32:33]
	v_fmac_f64_e32 v[32:33], s[10:11], v[26:27]
	v_add_f64 v[26:27], v[28:29], v[112:113]
	v_fmac_f64_e32 v[28:29], -0.5, v[24:25]
	v_add_f64 v[48:49], v[118:119], -v[140:141]
	v_add3_u32 v0, 0, v0, v1
	v_fma_f64 v[24:25], s[4:5], v[48:49], v[28:29]
	v_fmac_f64_e32 v[28:29], s[10:11], v[48:49]
	v_add_f64 v[48:49], v[26:27], v[138:139]
	v_add_f64 v[26:27], v[30:31], v[118:119]
	ds_write_b128 v0, v[90:93]
	ds_write_b128 v0, v[56:59] offset:480
	ds_write_b128 v0, v[36:39] offset:960
	v_mul_u32_u24_e32 v0, 0x5a0, v158
	v_lshlrev_b32_e32 v1, 4, v159
	v_add_f64 v[50:51], v[26:27], v[140:141]
	v_add_f64 v[26:27], v[118:119], v[140:141]
	v_add3_u32 v0, 0, v0, v1
	v_fmac_f64_e32 v[30:31], -0.5, v[26:27]
	v_add_f64 v[68:69], v[112:113], -v[138:139]
	ds_write_b128 v0, v[52:55]
	ds_write_b128 v0, v[44:47] offset:480
	ds_write_b128 v0, v[32:35] offset:960
	v_mul_u32_u24_e32 v0, 0x5a0, v164
	v_lshlrev_b32_e32 v1, 4, v165
	v_lshlrev_b32_e32 v72, 1, v122
	v_mov_b32_e32 v73, v127
	v_fma_f64 v[26:27], s[10:11], v[68:69], v[30:31]
	v_add3_u32 v0, 0, v0, v1
	v_lshl_add_u64 v[138:139], v[72:73], 4, s[8:9]
	v_fmac_f64_e32 v[30:31], s[4:5], v[68:69]
	ds_write_b128 v0, v[48:51]
	ds_write_b128 v0, v[24:27] offset:480
	ds_write_b128 v0, v[28:31] offset:960
	s_waitcnt lgkmcnt(0)
	s_barrier
	global_load_dwordx4 v[24:27], v[138:139], off offset:1280
	global_load_dwordx4 v[16:19], v[138:139], off offset:1296
	v_add_u32_e32 v0, -9, v122
	v_cndmask_b32_e32 v73, v0, v153, vcc
	v_lshlrev_b32_e32 v0, 1, v73
	v_mov_b32_e32 v1, v127
	v_lshl_add_u64 v[0:1], v[0:1], 4, s[8:9]
	global_load_dwordx4 v[12:15], v[0:1], off offset:1280
	global_load_dwordx4 v[8:11], v[0:1], off offset:1296
	v_mul_lo_u16_sdwa v0, v152, s13 dst_sel:DWORD dst_unused:UNUSED_PAD src0_sel:BYTE_0 src1_sel:DWORD
	v_lshrrev_b16_e32 v147, 14, v0
	v_mul_lo_u16_e32 v0, 0x5a, v147
	v_sub_u16_e32 v146, v152, v0
	v_lshlrev_b32_sdwa v0, v155, v146 dst_sel:DWORD dst_unused:UNUSED_PAD src0_sel:DWORD src1_sel:BYTE_0
	s_movk_i32 s13, 0x2d83
	global_load_dwordx4 v[28:31], v0, s[8:9] offset:1280
	global_load_dwordx4 v[20:23], v0, s[8:9] offset:1296
	v_mul_u32_u24_sdwa v0, v151, s13 dst_sel:DWORD dst_unused:UNUSED_PAD src0_sel:WORD_0 src1_sel:DWORD
	v_lshrrev_b32_e32 v149, 20, v0
	v_mul_lo_u16_e32 v0, 0x5a, v149
	v_sub_u16_e32 v148, v151, v0
	v_lshlrev_b32_e32 v32, 5, v148
	global_load_dwordx4 v[36:39], v32, s[8:9] offset:1280
	v_mul_u32_u24_sdwa v40, v126, s13 dst_sel:DWORD dst_unused:UNUSED_PAD src0_sel:WORD_0 src1_sel:DWORD
	v_lshrrev_b32_e32 v164, 20, v40
	v_mul_lo_u16_e32 v40, 0x5a, v164
	v_sub_u16_e32 v155, v126, v40
	ds_read_b128 v[4:7], v150
	ds_read_b128 v[0:3], v150 offset:1296
	global_load_dwordx4 v[32:35], v32, s[8:9] offset:1296
	v_lshlrev_b32_e32 v40, 5, v155
	global_load_dwordx4 v[44:47], v40, s[8:9] offset:1280
	v_mul_u32_u24_sdwa v48, v128, s13 dst_sel:DWORD dst_unused:UNUSED_PAD src0_sel:WORD_0 src1_sel:DWORD
	v_lshrrev_b32_e32 v156, 20, v48
	v_mul_lo_u16_e32 v48, 0x5a, v156
	v_sub_u16_e32 v157, v128, v48
	v_lshlrev_b32_e32 v66, 5, v157
	ds_read_b128 v[50:53], v150 offset:12960
	ds_read_b128 v[58:61], v150 offset:14256
	;; [unrolled: 1-line block ×4, first 2 shown]
	global_load_dwordx4 v[40:43], v40, s[8:9] offset:1296
	v_cmp_lt_u32_e32 vcc, 8, v122
	global_load_dwordx4 v[68:71], v66, s[8:9] offset:1280
	global_load_dwordx4 v[86:89], v66, s[8:9] offset:1296
	v_mul_u32_u24_sdwa v66, v132, s13 dst_sel:DWORD dst_unused:UNUSED_PAD src0_sel:WORD_0 src1_sel:DWORD
	v_lshrrev_b32_e32 v160, 20, v66
	v_mul_lo_u16_e32 v66, 0x5a, v160
	v_sub_u16_e32 v161, v132, v66
	v_lshlrev_b32_e32 v66, 5, v161
	global_load_dwordx4 v[104:107], v66, s[8:9] offset:1280
	global_load_dwordx4 v[114:117], v66, s[8:9] offset:1296
	v_lshlrev_b32_e32 v126, 1, v126
	s_waitcnt vmcnt(13) lgkmcnt(3)
	v_mul_f64 v[48:49], v[52:53], v[26:27]
	v_mul_f64 v[26:27], v[50:51], v[26:27]
	v_fmac_f64_e32 v[48:49], v[50:51], v[24:25]
	v_fma_f64 v[50:51], v[52:53], v[24:25], -v[26:27]
	v_mul_u32_u24_sdwa v24, v130, s13 dst_sel:DWORD dst_unused:UNUSED_PAD src0_sel:WORD_0 src1_sel:DWORD
	v_lshrrev_b32_e32 v162, 20, v24
	v_mul_lo_u16_e32 v24, 0x5a, v162
	v_sub_u16_e32 v163, v130, v24
	v_lshlrev_b32_e32 v24, 5, v163
	global_load_dwordx4 v[140:143], v24, s[8:9] offset:1280
	global_load_dwordx4 v[166:169], v24, s[8:9] offset:1296
	v_mul_u32_u24_sdwa v24, v136, s13 dst_sel:DWORD dst_unused:UNUSED_PAD src0_sel:WORD_0 src1_sel:DWORD
	v_lshrrev_b32_e32 v158, 20, v24
	v_mul_lo_u16_e32 v24, 0x5a, v158
	v_sub_u16_e32 v159, v136, v24
	v_lshlrev_b32_e32 v24, 5, v159
	global_load_dwordx4 v[170:173], v24, s[8:9] offset:1280
	global_load_dwordx4 v[174:177], v24, s[8:9] offset:1296
	s_waitcnt vmcnt(16) lgkmcnt(1)
	v_mul_f64 v[52:53], v[56:57], v[18:19]
	v_mul_f64 v[18:19], v[54:55], v[18:19]
	v_fmac_f64_e32 v[52:53], v[54:55], v[16:17]
	v_fma_f64 v[56:57], v[56:57], v[16:17], -v[18:19]
	v_mul_u32_u24_sdwa v16, v134, s13 dst_sel:DWORD dst_unused:UNUSED_PAD src0_sel:WORD_0 src1_sel:DWORD
	v_lshrrev_b32_e32 v16, 20, v16
	v_mul_lo_u16_e32 v16, 0x5a, v16
	v_sub_u16_e32 v165, v134, v16
	s_waitcnt vmcnt(15)
	v_mul_f64 v[54:55], v[60:61], v[14:15]
	v_lshlrev_b32_e32 v66, 5, v165
	v_mul_f64 v[14:15], v[58:59], v[14:15]
	v_fmac_f64_e32 v[54:55], v[58:59], v[12:13]
	global_load_dwordx4 v[178:181], v66, s[8:9] offset:1280
	v_fma_f64 v[80:81], v[60:61], v[12:13], -v[14:15]
	ds_read_b128 v[24:27], v150 offset:2592
	ds_read_b128 v[16:19], v150 offset:3888
	global_load_dwordx4 v[12:15], v66, s[8:9] offset:1296
	s_waitcnt vmcnt(16) lgkmcnt(2)
	v_mul_f64 v[90:91], v[64:65], v[10:11]
	ds_read_b128 v[58:61], v150 offset:15552
	v_mul_f64 v[10:11], v[62:63], v[10:11]
	v_fmac_f64_e32 v[90:91], v[62:63], v[8:9]
	v_fma_f64 v[110:111], v[64:65], v[8:9], -v[10:11]
	ds_read_b128 v[8:11], v150 offset:16848
	ds_read_b128 v[64:67], v150 offset:28512
	s_waitcnt vmcnt(15) lgkmcnt(2)
	v_mul_f64 v[62:63], v[60:61], v[30:31]
	v_fmac_f64_e32 v[62:63], v[58:59], v[28:29]
	v_mul_f64 v[30:31], v[58:59], v[30:31]
	s_waitcnt vmcnt(13) lgkmcnt(1)
	v_mul_f64 v[58:59], v[10:11], v[38:39]
	v_fma_f64 v[82:83], v[60:61], v[28:29], -v[30:31]
	ds_read_b128 v[28:31], v150 offset:29808
	s_waitcnt lgkmcnt(1)
	v_mul_f64 v[84:85], v[66:67], v[22:23]
	v_fmac_f64_e32 v[58:59], v[8:9], v[36:37]
	v_mul_f64 v[8:9], v[8:9], v[38:39]
	v_fmac_f64_e32 v[84:85], v[64:65], v[20:21]
	v_mul_f64 v[22:23], v[64:65], v[22:23]
	v_fma_f64 v[64:65], v[10:11], v[36:37], -v[8:9]
	ds_read_b128 v[8:11], v150 offset:18144
	v_fma_f64 v[102:103], v[66:67], v[20:21], -v[22:23]
	s_waitcnt vmcnt(12) lgkmcnt(1)
	v_mul_f64 v[20:21], v[28:29], v[34:35]
	v_fma_f64 v[94:95], v[30:31], v[32:33], -v[20:21]
	ds_read_b128 v[20:23], v150 offset:19440
	s_waitcnt vmcnt(11) lgkmcnt(1)
	v_mul_f64 v[60:61], v[10:11], v[46:47]
	v_mul_f64 v[66:67], v[30:31], v[34:35]
	v_fmac_f64_e32 v[60:61], v[8:9], v[44:45]
	v_mul_f64 v[8:9], v[8:9], v[46:47]
	v_fmac_f64_e32 v[66:67], v[28:29], v[32:33]
	ds_read_b128 v[28:31], v150 offset:31104
	v_fma_f64 v[78:79], v[10:11], v[44:45], -v[8:9]
	ds_read_b128 v[8:11], v150 offset:32400
	s_waitcnt vmcnt(9) lgkmcnt(2)
	v_mul_f64 v[44:45], v[22:23], v[70:71]
	v_fmac_f64_e32 v[44:45], v[20:21], v[68:69]
	v_mul_f64 v[20:21], v[20:21], v[70:71]
	v_fma_f64 v[74:75], v[22:23], v[68:69], -v[20:21]
	s_waitcnt vmcnt(8) lgkmcnt(0)
	v_mul_f64 v[76:77], v[10:11], v[88:89]
	ds_read_b128 v[20:23], v150 offset:20736
	v_fmac_f64_e32 v[76:77], v[8:9], v[86:87]
	v_mul_f64 v[8:9], v[8:9], v[88:89]
	v_fma_f64 v[100:101], v[10:11], v[86:87], -v[8:9]
	ds_read_b128 v[8:11], v150 offset:22032
	v_mul_f64 v[96:97], v[30:31], v[42:43]
	s_waitcnt vmcnt(7) lgkmcnt(1)
	v_mul_f64 v[46:47], v[22:23], v[106:107]
	v_fmac_f64_e32 v[96:97], v[28:29], v[40:41]
	v_mul_f64 v[28:29], v[28:29], v[42:43]
	v_fmac_f64_e32 v[46:47], v[20:21], v[104:105]
	v_mul_f64 v[20:21], v[20:21], v[106:107]
	v_fma_f64 v[112:113], v[30:31], v[40:41], -v[28:29]
	ds_read_b128 v[28:31], v150 offset:33696
	v_fma_f64 v[92:93], v[22:23], v[104:105], -v[20:21]
	ds_read_b128 v[20:23], v150 offset:34992
	s_movk_i32 s13, 0x10e0
	s_waitcnt vmcnt(6) lgkmcnt(1)
	v_mul_f64 v[104:105], v[30:31], v[116:117]
	s_waitcnt vmcnt(5)
	v_mul_f64 v[68:69], v[10:11], v[142:143]
	v_fmac_f64_e32 v[68:69], v[8:9], v[140:141]
	v_mul_f64 v[8:9], v[8:9], v[142:143]
	v_fma_f64 v[86:87], v[10:11], v[140:141], -v[8:9]
	ds_read_b128 v[8:11], v150 offset:23328
	s_waitcnt vmcnt(4) lgkmcnt(1)
	v_mul_f64 v[88:89], v[22:23], v[168:169]
	v_fmac_f64_e32 v[88:89], v[20:21], v[166:167]
	v_mul_f64 v[20:21], v[20:21], v[168:169]
	v_fma_f64 v[106:107], v[22:23], v[166:167], -v[20:21]
	ds_read_b128 v[20:23], v150 offset:24624
	s_waitcnt vmcnt(3) lgkmcnt(1)
	v_mul_f64 v[70:71], v[10:11], v[172:173]
	v_fmac_f64_e32 v[104:105], v[28:29], v[114:115]
	v_mul_f64 v[28:29], v[28:29], v[116:117]
	v_fmac_f64_e32 v[70:71], v[8:9], v[170:171]
	v_mul_f64 v[8:9], v[8:9], v[172:173]
	v_fma_f64 v[116:117], v[30:31], v[114:115], -v[28:29]
	ds_read_b128 v[28:31], v150 offset:36288
	v_fma_f64 v[98:99], v[10:11], v[170:171], -v[8:9]
	ds_read_b128 v[8:11], v150 offset:37584
	ds_read_b128 v[36:39], v129
	ds_read_b128 v[32:35], v123
	v_add_f64 v[166:167], v[50:51], -v[56:57]
	s_waitcnt vmcnt(2) lgkmcnt(3)
	v_mul_f64 v[108:109], v[30:31], v[176:177]
	s_waitcnt vmcnt(1)
	v_mul_f64 v[114:115], v[22:23], v[180:181]
	v_fmac_f64_e32 v[108:109], v[28:29], v[174:175]
	s_waitcnt vmcnt(0) lgkmcnt(2)
	v_mul_f64 v[142:143], v[10:11], v[14:15]
	v_fmac_f64_e32 v[142:143], v[8:9], v[12:13]
	v_mul_f64 v[8:9], v[8:9], v[14:15]
	v_fma_f64 v[144:145], v[10:11], v[12:13], -v[8:9]
	v_add_f64 v[8:9], v[4:5], v[48:49]
	v_add_f64 v[40:41], v[8:9], v[52:53]
	v_add_f64 v[8:9], v[6:7], v[50:51]
	v_mul_f64 v[28:29], v[28:29], v[176:177]
	v_fmac_f64_e32 v[114:115], v[20:21], v[178:179]
	v_mul_f64 v[20:21], v[20:21], v[180:181]
	v_add_f64 v[42:43], v[8:9], v[56:57]
	v_fma_f64 v[118:119], v[30:31], v[174:175], -v[28:29]
	v_fma_f64 v[140:141], v[22:23], v[178:179], -v[20:21]
	ds_read_b128 v[28:31], v131
	ds_read_b128 v[20:23], v133
	ds_read_b128 v[12:15], v135
	ds_read_b128 v[8:11], v137
	s_waitcnt lgkmcnt(0)
	s_barrier
	ds_write_b128 v150, v[40:43]
	v_add_f64 v[40:41], v[48:49], v[52:53]
	v_fmac_f64_e32 v[4:5], -0.5, v[40:41]
	v_add_f64 v[40:41], v[50:51], v[56:57]
	v_fmac_f64_e32 v[6:7], -0.5, v[40:41]
	v_add_f64 v[48:49], v[48:49], -v[52:53]
	v_fma_f64 v[40:41], s[4:5], v[166:167], v[4:5]
	v_fma_f64 v[42:43], s[10:11], v[48:49], v[6:7]
	ds_write_b128 v150, v[40:43] offset:1440
	v_add_f64 v[40:41], v[0:1], v[54:55]
	v_add_f64 v[170:171], v[40:41], v[90:91]
	;; [unrolled: 1-line block ×5, first 2 shown]
	v_fmac_f64_e32 v[2:3], -0.5, v[40:41]
	v_add_f64 v[40:41], v[54:55], -v[90:91]
	v_fma_f64 v[168:169], s[10:11], v[40:41], v[2:3]
	v_fmac_f64_e32 v[2:3], s[4:5], v[40:41]
	v_add_f64 v[40:41], v[24:25], v[62:63]
	v_add_f64 v[42:43], v[54:55], v[90:91]
	;; [unrolled: 1-line block ×4, first 2 shown]
	v_fmac_f64_e32 v[0:1], -0.5, v[42:43]
	v_add_f64 v[42:43], v[80:81], -v[110:111]
	v_add_f64 v[176:177], v[40:41], v[102:103]
	v_add_f64 v[40:41], v[82:83], v[102:103]
	v_fmac_f64_e32 v[4:5], s[10:11], v[166:167]
	v_fma_f64 v[166:167], s[4:5], v[42:43], v[0:1]
	v_fmac_f64_e32 v[0:1], s[10:11], v[42:43]
	v_add_f64 v[42:43], v[62:63], v[84:85]
	v_fmac_f64_e32 v[26:27], -0.5, v[40:41]
	v_add_f64 v[40:41], v[62:63], -v[84:85]
	v_fmac_f64_e32 v[24:25], -0.5, v[42:43]
	v_add_f64 v[42:43], v[82:83], -v[102:103]
	v_fma_f64 v[82:83], s[10:11], v[40:41], v[26:27]
	v_fmac_f64_e32 v[26:27], s[4:5], v[40:41]
	v_add_f64 v[40:41], v[16:17], v[58:59]
	v_add_f64 v[182:183], v[40:41], v[66:67]
	;; [unrolled: 1-line block ×5, first 2 shown]
	v_fmac_f64_e32 v[18:19], -0.5, v[40:41]
	v_add_f64 v[40:41], v[58:59], -v[66:67]
	v_fma_f64 v[180:181], s[10:11], v[40:41], v[18:19]
	v_fmac_f64_e32 v[18:19], s[4:5], v[40:41]
	v_add_f64 v[40:41], v[36:37], v[60:61]
	v_add_f64 v[186:187], v[40:41], v[96:97]
	;; [unrolled: 1-line block ×3, first 2 shown]
	v_fma_f64 v[80:81], s[4:5], v[42:43], v[24:25]
	v_fmac_f64_e32 v[24:25], s[10:11], v[42:43]
	v_add_f64 v[42:43], v[58:59], v[66:67]
	v_add_f64 v[188:189], v[40:41], v[112:113]
	;; [unrolled: 1-line block ×3, first 2 shown]
	v_fmac_f64_e32 v[16:17], -0.5, v[42:43]
	v_add_f64 v[42:43], v[64:65], -v[94:95]
	v_fmac_f64_e32 v[38:39], -0.5, v[40:41]
	v_add_f64 v[40:41], v[60:61], -v[96:97]
	v_fmac_f64_e32 v[6:7], s[4:5], v[48:49]
	v_fma_f64 v[178:179], s[4:5], v[42:43], v[16:17]
	v_fmac_f64_e32 v[16:17], s[10:11], v[42:43]
	v_add_f64 v[42:43], v[60:61], v[96:97]
	v_fma_f64 v[96:97], s[10:11], v[40:41], v[38:39]
	v_fmac_f64_e32 v[38:39], s[4:5], v[40:41]
	v_add_f64 v[40:41], v[32:33], v[44:45]
	v_add_f64 v[190:191], v[40:41], v[76:77]
	;; [unrolled: 1-line block ×3, first 2 shown]
	ds_write_b128 v150, v[4:7] offset:2880
	v_mov_b32_e32 v4, 0x10e0
	v_add_f64 v[192:193], v[40:41], v[100:101]
	v_add_f64 v[40:41], v[74:75], v[100:101]
	v_cndmask_b32_e32 v4, 0, v4, vcc
	v_lshlrev_b32_e32 v5, 4, v73
	v_fmac_f64_e32 v[36:37], -0.5, v[42:43]
	v_add_f64 v[42:43], v[78:79], -v[112:113]
	v_fmac_f64_e32 v[34:35], -0.5, v[40:41]
	v_add_f64 v[40:41], v[44:45], -v[76:77]
	v_add3_u32 v4, 0, v4, v5
	v_fma_f64 v[94:95], s[4:5], v[42:43], v[36:37]
	v_fmac_f64_e32 v[36:37], s[10:11], v[42:43]
	v_add_f64 v[42:43], v[44:45], v[76:77]
	v_fma_f64 v[112:113], s[10:11], v[40:41], v[34:35]
	v_fmac_f64_e32 v[34:35], s[4:5], v[40:41]
	v_add_f64 v[40:41], v[28:29], v[46:47]
	ds_write_b128 v4, v[170:173]
	ds_write_b128 v4, v[166:169] offset:1440
	ds_write_b128 v4, v[0:3] offset:2880
	v_mul_u32_u24_e32 v0, 0x10e0, v147
	v_lshlrev_b32_sdwa v1, v154, v146 dst_sel:DWORD dst_unused:UNUSED_PAD src0_sel:DWORD src1_sel:BYTE_0
	v_fmac_f64_e32 v[32:33], -0.5, v[42:43]
	v_add_f64 v[42:43], v[74:75], -v[100:101]
	v_add_f64 v[74:75], v[40:41], v[104:105]
	v_add_f64 v[40:41], v[30:31], v[92:93]
	v_add3_u32 v0, 0, v0, v1
	v_add_f64 v[76:77], v[40:41], v[116:117]
	v_add_f64 v[40:41], v[92:93], v[116:117]
	ds_write_b128 v0, v[174:177]
	ds_write_b128 v0, v[80:83] offset:1440
	ds_write_b128 v0, v[24:27] offset:2880
	v_perm_b32 v0, v164, v149, s12
	v_fmac_f64_e32 v[30:31], -0.5, v[40:41]
	v_add_f64 v[40:41], v[46:47], -v[104:105]
	v_pk_mul_lo_u16 v0, v0, s13 op_sel_hi:[1,0]
	v_fma_f64 v[66:67], s[10:11], v[40:41], v[30:31]
	v_fmac_f64_e32 v[30:31], s[4:5], v[40:41]
	v_add_f64 v[40:41], v[20:21], v[68:69]
	v_and_b32_e32 v1, 0xffe0, v0
	v_lshlrev_b32_e32 v2, 4, v148
	v_add_f64 v[60:61], v[40:41], v[88:89]
	v_add_f64 v[40:41], v[22:23], v[86:87]
	v_add3_u32 v1, 0, v1, v2
	v_add_f64 v[62:63], v[40:41], v[106:107]
	v_add_f64 v[40:41], v[86:87], v[106:107]
	ds_write_b128 v1, v[182:185]
	ds_write_b128 v1, v[178:181] offset:1440
	ds_write_b128 v1, v[16:19] offset:2880
	v_lshrrev_b32_e32 v0, 16, v0
	v_lshlrev_b32_e32 v1, 4, v155
	v_fma_f64 v[110:111], s[4:5], v[42:43], v[32:33]
	v_fmac_f64_e32 v[32:33], s[10:11], v[42:43]
	v_add_f64 v[42:43], v[46:47], v[104:105]
	v_fmac_f64_e32 v[22:23], -0.5, v[40:41]
	v_add_f64 v[40:41], v[68:69], -v[88:89]
	v_add3_u32 v0, 0, v0, v1
	v_fmac_f64_e32 v[28:29], -0.5, v[42:43]
	v_add_f64 v[42:43], v[92:93], -v[116:117]
	v_fma_f64 v[58:59], s[10:11], v[40:41], v[22:23]
	v_fmac_f64_e32 v[22:23], s[4:5], v[40:41]
	v_add_f64 v[40:41], v[12:13], v[70:71]
	ds_write_b128 v0, v[186:189]
	ds_write_b128 v0, v[94:97] offset:1440
	ds_write_b128 v0, v[36:39] offset:2880
	v_mul_u32_u24_e32 v0, 0x10e0, v156
	v_lshlrev_b32_e32 v1, 4, v157
	v_fma_f64 v[64:65], s[4:5], v[42:43], v[28:29]
	v_fmac_f64_e32 v[28:29], s[10:11], v[42:43]
	v_add_f64 v[42:43], v[68:69], v[88:89]
	v_add_f64 v[52:53], v[40:41], v[108:109]
	;; [unrolled: 1-line block ×3, first 2 shown]
	v_add3_u32 v0, 0, v0, v1
	v_fmac_f64_e32 v[20:21], -0.5, v[42:43]
	v_add_f64 v[42:43], v[86:87], -v[106:107]
	v_add_f64 v[54:55], v[40:41], v[118:119]
	v_add_f64 v[40:41], v[98:99], v[118:119]
	ds_write_b128 v0, v[190:193]
	ds_write_b128 v0, v[110:113] offset:1440
	ds_write_b128 v0, v[32:35] offset:2880
	v_mul_u32_u24_e32 v0, 0x10e0, v160
	v_lshlrev_b32_e32 v1, 4, v161
	v_fma_f64 v[56:57], s[4:5], v[42:43], v[20:21]
	v_fmac_f64_e32 v[20:21], s[10:11], v[42:43]
	v_add_f64 v[42:43], v[70:71], v[108:109]
	v_fmac_f64_e32 v[14:15], -0.5, v[40:41]
	v_add_f64 v[40:41], v[70:71], -v[108:109]
	v_add3_u32 v0, 0, v0, v1
	v_fmac_f64_e32 v[12:13], -0.5, v[42:43]
	v_add_f64 v[42:43], v[98:99], -v[118:119]
	v_fma_f64 v[46:47], s[10:11], v[40:41], v[14:15]
	v_fmac_f64_e32 v[14:15], s[4:5], v[40:41]
	v_add_f64 v[40:41], v[114:115], v[142:143]
	ds_write_b128 v0, v[74:77]
	ds_write_b128 v0, v[64:67] offset:1440
	ds_write_b128 v0, v[28:31] offset:2880
	v_mul_u32_u24_e32 v0, 0x10e0, v162
	v_lshlrev_b32_e32 v1, 4, v163
	v_fma_f64 v[44:45], s[4:5], v[42:43], v[12:13]
	v_fmac_f64_e32 v[12:13], s[10:11], v[42:43]
	v_add_f64 v[42:43], v[8:9], v[114:115]
	v_fmac_f64_e32 v[8:9], -0.5, v[40:41]
	v_add_f64 v[48:49], v[140:141], -v[144:145]
	v_add3_u32 v0, 0, v0, v1
	v_fma_f64 v[40:41], s[4:5], v[48:49], v[8:9]
	v_fmac_f64_e32 v[8:9], s[10:11], v[48:49]
	v_add_f64 v[48:49], v[42:43], v[142:143]
	v_add_f64 v[42:43], v[10:11], v[140:141]
	ds_write_b128 v0, v[60:63]
	ds_write_b128 v0, v[56:59] offset:1440
	ds_write_b128 v0, v[20:23] offset:2880
	v_mul_u32_u24_e32 v0, 0x10e0, v158
	v_lshlrev_b32_e32 v1, 4, v159
	v_add_f64 v[50:51], v[42:43], v[144:145]
	v_add_f64 v[42:43], v[140:141], v[144:145]
	v_add3_u32 v0, 0, v0, v1
	v_fmac_f64_e32 v[10:11], -0.5, v[42:43]
	v_add_f64 v[68:69], v[114:115], -v[142:143]
	ds_write_b128 v0, v[52:55]
	ds_write_b128 v0, v[44:47] offset:1440
	ds_write_b128 v0, v[12:15] offset:2880
	v_lshl_add_u32 v0, v165, 4, 0
	v_fma_f64 v[42:43], s[10:11], v[68:69], v[10:11]
	v_fmac_f64_e32 v[10:11], s[4:5], v[68:69]
	ds_write_b128 v0, v[48:51] offset:34560
	ds_write_b128 v0, v[40:43] offset:36000
	;; [unrolled: 1-line block ×3, first 2 shown]
	v_add_co_u32_e32 v0, vcc, s14, v138
	s_mov_b64 s[12:13], 0x1040
	s_nop 0
	v_addc_co_u32_e32 v1, vcc, 0, v139, vcc
	s_waitcnt lgkmcnt(0)
	s_barrier
	global_load_dwordx4 v[44:47], v[0:1], off offset:64
	v_lshl_add_u64 v[0:1], v[138:139], 0, s[12:13]
	global_load_dwordx4 v[48:51], v[0:1], off offset:16
	v_lshlrev_b32_e32 v0, 1, v153
	v_mov_b32_e32 v1, v127
	v_lshl_add_u64 v[140:141], v[0:1], 4, s[8:9]
	v_add_co_u32_e32 v0, vcc, s14, v140
	v_mov_b32_e32 v73, v127
	s_nop 0
	v_addc_co_u32_e32 v1, vcc, 0, v141, vcc
	global_load_dwordx4 v[36:39], v[0:1], off offset:64
	ds_read_b128 v[12:15], v150
	ds_read_b128 v[8:11], v150 offset:1296
	ds_read_b128 v[52:55], v150 offset:12960
	;; [unrolled: 1-line block ×11, first 2 shown]
	s_waitcnt vmcnt(2) lgkmcnt(9)
	v_mul_f64 v[74:75], v[54:55], v[46:47]
	v_mul_f64 v[46:47], v[52:53], v[46:47]
	v_fmac_f64_e32 v[74:75], v[52:53], v[44:45]
	v_fma_f64 v[78:79], v[54:55], v[44:45], -v[46:47]
	s_waitcnt vmcnt(1) lgkmcnt(7)
	v_mul_f64 v[76:77], v[58:59], v[50:51]
	v_mul_f64 v[44:45], v[56:57], v[50:51]
	v_fmac_f64_e32 v[76:77], v[56:57], v[48:49]
	v_fma_f64 v[80:81], v[58:59], v[48:49], -v[44:45]
	v_lshlrev_b32_e32 v48, 1, v152
	v_mov_b32_e32 v49, v127
	v_lshl_add_u64 v[142:143], v[48:49], 4, s[8:9]
	v_add_co_u32_e32 v58, vcc, s14, v142
	v_lshl_add_u64 v[44:45], v[140:141], 0, s[12:13]
	v_lshl_add_u64 v[56:57], v[142:143], 0, s[12:13]
	v_addc_co_u32_e32 v59, vcc, 0, v143, vcc
	global_load_dwordx4 v[44:47], v[44:45], off offset:16
	s_nop 0
	global_load_dwordx4 v[48:51], v[58:59], off offset:64
	global_load_dwordx4 v[52:55], v[56:57], off offset:16
	v_subrev_u32_e32 v56, 27, v122
	v_cmp_gt_u32_e32 vcc, 27, v122
	v_mov_b32_e32 v57, v127
	s_waitcnt vmcnt(3)
	v_mul_f64 v[82:83], v[42:43], v[38:39]
	v_cndmask_b32_e32 v144, v56, v151, vcc
	v_lshlrev_b32_e32 v56, 1, v144
	v_lshl_add_u64 v[56:57], v[56:57], 4, s[8:9]
	v_add_co_u32_e32 v66, vcc, s14, v56
	v_lshl_add_u64 v[64:65], v[56:57], 0, s[12:13]
	s_nop 0
	v_addc_co_u32_e32 v67, vcc, 0, v57, vcc
	global_load_dwordx4 v[60:63], v[66:67], off offset:64
	global_load_dwordx4 v[56:59], v[64:65], off offset:16
	v_add_u32_e32 v64, 0x6c, v72
	v_mov_b32_e32 v65, v127
	v_lshl_add_u64 v[64:65], v[64:65], 4, s[8:9]
	v_add_co_u32_e32 v86, vcc, s14, v64
	v_add_u32_e32 v72, 0x10e, v72
	s_nop 0
	v_addc_co_u32_e32 v87, vcc, 0, v65, vcc
	v_lshl_add_u64 v[72:73], v[72:73], 4, s[8:9]
	v_lshl_add_u64 v[92:93], v[72:73], 0, s[12:13]
	v_add_co_u32_e32 v72, vcc, s14, v72
	v_lshl_add_u64 v[84:85], v[64:65], 0, s[12:13]
	s_nop 0
	v_addc_co_u32_e32 v73, vcc, 0, v73, vcc
	global_load_dwordx4 v[64:67], v[86:87], off offset:64
	global_load_dwordx4 v[68:71], v[84:85], off offset:16
	s_nop 0
	global_load_dwordx4 v[84:87], v[72:73], off offset:64
	global_load_dwordx4 v[88:91], v[92:93], off offset:16
	v_mul_u32_u24_sdwa v72, v132, s15 dst_sel:DWORD dst_unused:UNUSED_PAD src0_sel:WORD_0 src1_sel:DWORD
	v_lshrrev_b32_e32 v145, 23, v72
	v_mul_lo_u16_e32 v72, 0x10e, v145
	v_sub_u16_e32 v146, v132, v72
	v_lshlrev_b32_e32 v72, 5, v146
	v_mov_b32_e32 v73, v127
	v_lshl_add_u64 v[72:73], s[8:9], 0, v[72:73]
	v_lshl_add_u64 v[96:97], v[72:73], 0, s[12:13]
	v_add_co_u32_e32 v72, vcc, s14, v72
	v_mul_f64 v[38:39], v[40:41], v[38:39]
	s_nop 0
	v_addc_co_u32_e32 v73, vcc, 0, v73, vcc
	global_load_dwordx4 v[92:95], v[72:73], off offset:64
	s_nop 0
	global_load_dwordx4 v[96:99], v[96:97], off offset:16
	v_mul_u32_u24_sdwa v72, v130, s15 dst_sel:DWORD dst_unused:UNUSED_PAD src0_sel:WORD_0 src1_sel:DWORD
	v_lshrrev_b32_e32 v72, 23, v72
	v_mul_lo_u16_e32 v72, 0x10e, v72
	v_sub_u16_e32 v148, v130, v72
	v_lshlrev_b32_e32 v72, 5, v148
	v_mov_b32_e32 v73, v127
	v_lshl_add_u64 v[72:73], s[8:9], 0, v[72:73]
	v_lshl_add_u64 v[104:105], v[72:73], 0, s[12:13]
	v_add_co_u32_e32 v72, vcc, s14, v72
	v_fmac_f64_e32 v[82:83], v[40:41], v[36:37]
	s_nop 0
	v_addc_co_u32_e32 v73, vcc, 0, v73, vcc
	global_load_dwordx4 v[100:103], v[72:73], off offset:64
	s_nop 0
	global_load_dwordx4 v[104:107], v[104:105], off offset:16
	v_mul_u32_u24_sdwa v72, v136, s15 dst_sel:DWORD dst_unused:UNUSED_PAD src0_sel:WORD_0 src1_sel:DWORD
	v_lshrrev_b32_e32 v72, 23, v72
	v_mul_lo_u16_e32 v72, 0x10e, v72
	v_sub_u16_e32 v147, v136, v72
	v_lshlrev_b32_e32 v72, 5, v147
	v_mov_b32_e32 v73, v127
	v_lshl_add_u64 v[72:73], s[8:9], 0, v[72:73]
	v_lshl_add_u64 v[112:113], v[72:73], 0, s[12:13]
	v_add_co_u32_e32 v72, vcc, s14, v72
	v_fma_f64 v[152:153], v[42:43], v[36:37], -v[38:39]
	s_nop 0
	v_addc_co_u32_e32 v73, vcc, 0, v73, vcc
	global_load_dwordx4 v[108:111], v[72:73], off offset:64
	s_nop 0
	global_load_dwordx4 v[112:115], v[112:113], off offset:16
	v_mul_u32_u24_sdwa v72, v134, s15 dst_sel:DWORD dst_unused:UNUSED_PAD src0_sel:WORD_0 src1_sel:DWORD
	v_lshrrev_b32_e32 v72, 23, v72
	v_mul_lo_u16_e32 v72, 0x10e, v72
	v_sub_u16_e32 v149, v134, v72
	v_lshlrev_b32_e32 v72, 5, v149
	v_mov_b32_e32 v73, v127
	v_lshl_add_u64 v[72:73], s[8:9], 0, v[72:73]
	v_add_co_u32_e32 v116, vcc, s14, v72
	v_lshl_add_u64 v[36:37], v[72:73], 0, s[12:13]
	s_nop 0
	v_addc_co_u32_e32 v117, vcc, 0, v73, vcc
	global_load_dwordx4 v[116:119], v[116:117], off offset:64
	s_waitcnt vmcnt(15) lgkmcnt(6)
	v_mul_f64 v[154:155], v[30:31], v[46:47]
	global_load_dwordx4 v[36:39], v[36:37], off offset:16
	v_fmac_f64_e32 v[154:155], v[28:29], v[44:45]
	v_mul_f64 v[28:29], v[28:29], v[46:47]
	v_fma_f64 v[44:45], v[30:31], v[44:45], -v[28:29]
	s_waitcnt vmcnt(15) lgkmcnt(3)
	v_mul_f64 v[46:47], v[34:35], v[50:51]
	v_mul_f64 v[28:29], v[32:33], v[50:51]
	s_waitcnt vmcnt(14) lgkmcnt(1)
	v_mul_f64 v[50:51], v[26:27], v[54:55]
	v_fmac_f64_e32 v[50:51], v[24:25], v[52:53]
	v_mul_f64 v[24:25], v[24:25], v[54:55]
	s_waitcnt vmcnt(13)
	v_mul_f64 v[54:55], v[18:19], v[62:63]
	v_fmac_f64_e32 v[54:55], v[16:17], v[60:61]
	v_mul_f64 v[16:17], v[16:17], v[62:63]
	v_fmac_f64_e32 v[46:47], v[32:33], v[48:49]
	v_fma_f64 v[48:49], v[34:35], v[48:49], -v[28:29]
	v_fma_f64 v[52:53], v[26:27], v[52:53], -v[24:25]
	;; [unrolled: 1-line block ×3, first 2 shown]
	ds_read_b128 v[24:27], v129
	ds_read_b128 v[16:19], v123
	ds_read_b128 v[28:31], v150 offset:18144
	s_waitcnt vmcnt(12) lgkmcnt(3)
	v_mul_f64 v[62:63], v[22:23], v[58:59]
	v_fmac_f64_e32 v[62:63], v[20:21], v[56:57]
	v_mul_f64 v[20:21], v[20:21], v[58:59]
	ds_read_b128 v[32:35], v150 offset:31104
	v_fma_f64 v[56:57], v[22:23], v[56:57], -v[20:21]
	ds_read_b128 v[20:23], v150 offset:19440
	s_waitcnt vmcnt(11) lgkmcnt(2)
	v_mul_f64 v[58:59], v[30:31], v[66:67]
	v_fmac_f64_e32 v[58:59], v[28:29], v[64:65]
	v_mul_f64 v[28:29], v[28:29], v[66:67]
	v_fma_f64 v[64:65], v[30:31], v[64:65], -v[28:29]
	ds_read_b128 v[28:31], v150 offset:32400
	s_waitcnt vmcnt(10) lgkmcnt(2)
	v_mul_f64 v[66:67], v[34:35], v[70:71]
	v_fmac_f64_e32 v[66:67], v[32:33], v[68:69]
	v_mul_f64 v[32:33], v[32:33], v[70:71]
	s_waitcnt vmcnt(9) lgkmcnt(1)
	v_mul_f64 v[70:71], v[22:23], v[86:87]
	v_fmac_f64_e32 v[70:71], v[20:21], v[84:85]
	v_mul_f64 v[20:21], v[20:21], v[86:87]
	v_fma_f64 v[156:157], v[22:23], v[84:85], -v[20:21]
	ds_read_b128 v[20:23], v150 offset:20736
	s_waitcnt vmcnt(8) lgkmcnt(1)
	v_mul_f64 v[158:159], v[30:31], v[90:91]
	v_fmac_f64_e32 v[158:159], v[28:29], v[88:89]
	v_mul_f64 v[28:29], v[28:29], v[90:91]
	v_fma_f64 v[160:161], v[30:31], v[88:89], -v[28:29]
	ds_read_b128 v[28:31], v150 offset:22032
	s_waitcnt vmcnt(7) lgkmcnt(1)
	v_mul_f64 v[162:163], v[22:23], v[94:95]
	v_fma_f64 v[68:69], v[34:35], v[68:69], -v[32:33]
	ds_read_b128 v[32:35], v150 offset:33696
	v_fmac_f64_e32 v[162:163], v[20:21], v[92:93]
	v_mul_f64 v[20:21], v[20:21], v[94:95]
	v_fma_f64 v[164:165], v[22:23], v[92:93], -v[20:21]
	ds_read_b128 v[20:23], v150 offset:34992
	s_waitcnt vmcnt(6) lgkmcnt(1)
	v_mul_f64 v[166:167], v[34:35], v[98:99]
	s_waitcnt vmcnt(5)
	v_mul_f64 v[170:171], v[30:31], v[102:103]
	v_fmac_f64_e32 v[170:171], v[28:29], v[100:101]
	v_mul_f64 v[28:29], v[28:29], v[102:103]
	v_fmac_f64_e32 v[166:167], v[32:33], v[96:97]
	v_mul_f64 v[32:33], v[32:33], v[98:99]
	v_fma_f64 v[172:173], v[30:31], v[100:101], -v[28:29]
	s_waitcnt vmcnt(4) lgkmcnt(0)
	v_mul_f64 v[174:175], v[22:23], v[106:107]
	ds_read_b128 v[28:31], v150 offset:23328
	v_fma_f64 v[168:169], v[34:35], v[96:97], -v[32:33]
	v_fmac_f64_e32 v[174:175], v[20:21], v[104:105]
	v_mul_f64 v[20:21], v[20:21], v[106:107]
	ds_read_b128 v[32:35], v150 offset:36288
	ds_read_b128 v[40:43], v150 offset:37584
	v_fma_f64 v[176:177], v[22:23], v[104:105], -v[20:21]
	ds_read_b128 v[20:23], v150 offset:24624
	s_waitcnt vmcnt(3) lgkmcnt(3)
	v_mul_f64 v[178:179], v[30:31], v[110:111]
	v_fmac_f64_e32 v[178:179], v[28:29], v[108:109]
	v_mul_f64 v[28:29], v[28:29], v[110:111]
	s_waitcnt vmcnt(2) lgkmcnt(2)
	v_mul_f64 v[182:183], v[34:35], v[114:115]
	v_fma_f64 v[180:181], v[30:31], v[108:109], -v[28:29]
	v_fmac_f64_e32 v[182:183], v[32:33], v[112:113]
	v_mul_f64 v[28:29], v[32:33], v[114:115]
	v_fma_f64 v[184:185], v[34:35], v[112:113], -v[28:29]
	v_cmp_lt_u32_e32 vcc, 26, v122
	s_mov_b64 s[12:13], 0x3200
	s_waitcnt vmcnt(1) lgkmcnt(0)
	v_mul_f64 v[186:187], v[22:23], v[118:119]
	v_fmac_f64_e32 v[186:187], v[20:21], v[116:117]
	s_waitcnt vmcnt(0)
	v_mul_f64 v[32:33], v[40:41], v[38:39]
	v_mul_f64 v[20:21], v[20:21], v[118:119]
	;; [unrolled: 1-line block ×3, first 2 shown]
	v_fma_f64 v[42:43], v[42:43], v[36:37], -v[32:33]
	v_add_f64 v[32:33], v[12:13], v[74:75]
	v_fma_f64 v[188:189], v[22:23], v[116:117], -v[20:21]
	v_add_f64 v[116:117], v[32:33], v[76:77]
	v_add_f64 v[32:33], v[74:75], v[76:77]
	v_fmac_f64_e32 v[12:13], -0.5, v[32:33]
	v_add_f64 v[32:33], v[78:79], -v[80:81]
	v_fma_f64 v[108:109], s[4:5], v[32:33], v[12:13]
	v_fmac_f64_e32 v[12:13], s[10:11], v[32:33]
	v_add_f64 v[32:33], v[14:15], v[78:79]
	v_add_f64 v[118:119], v[32:33], v[80:81]
	v_add_f64 v[32:33], v[78:79], v[80:81]
	v_fmac_f64_e32 v[14:15], -0.5, v[32:33]
	v_add_f64 v[32:33], v[74:75], -v[76:77]
	v_fma_f64 v[110:111], s[10:11], v[32:33], v[14:15]
	v_fmac_f64_e32 v[14:15], s[4:5], v[32:33]
	v_add_f64 v[32:33], v[8:9], v[82:83]
	;; [unrolled: 7-line block ×10, first 2 shown]
	v_add_f64 v[76:77], v[32:33], v[158:159]
	v_add_f64 v[32:33], v[70:71], v[158:159]
	ds_read_b128 v[28:31], v131
	ds_read_b128 v[20:23], v133
	v_fmac_f64_e32 v[16:17], -0.5, v[32:33]
	v_add_f64 v[32:33], v[156:157], -v[160:161]
	v_fma_f64 v[72:73], s[4:5], v[32:33], v[16:17]
	v_fmac_f64_e32 v[16:17], s[10:11], v[32:33]
	v_add_f64 v[32:33], v[18:19], v[156:157]
	v_add_f64 v[78:79], v[32:33], v[160:161]
	;; [unrolled: 1-line block ×3, first 2 shown]
	v_fmac_f64_e32 v[18:19], -0.5, v[32:33]
	v_add_f64 v[32:33], v[70:71], -v[158:159]
	v_fma_f64 v[74:75], s[10:11], v[32:33], v[18:19]
	v_fmac_f64_e32 v[18:19], s[4:5], v[32:33]
	s_waitcnt lgkmcnt(1)
	v_add_f64 v[32:33], v[28:29], v[162:163]
	v_add_f64 v[68:69], v[32:33], v[166:167]
	;; [unrolled: 1-line block ×3, first 2 shown]
	v_fmac_f64_e32 v[28:29], -0.5, v[32:33]
	v_add_f64 v[32:33], v[164:165], -v[168:169]
	v_fma_f64 v[64:65], s[4:5], v[32:33], v[28:29]
	v_fmac_f64_e32 v[28:29], s[10:11], v[32:33]
	v_add_f64 v[32:33], v[30:31], v[164:165]
	v_add_f64 v[70:71], v[32:33], v[168:169]
	;; [unrolled: 1-line block ×3, first 2 shown]
	v_fmac_f64_e32 v[30:31], -0.5, v[32:33]
	v_add_f64 v[32:33], v[162:163], -v[166:167]
	v_fma_f64 v[66:67], s[10:11], v[32:33], v[30:31]
	v_fmac_f64_e32 v[30:31], s[4:5], v[32:33]
	s_waitcnt lgkmcnt(0)
	v_add_f64 v[32:33], v[20:21], v[170:171]
	v_add_f64 v[60:61], v[32:33], v[174:175]
	;; [unrolled: 1-line block ×3, first 2 shown]
	v_fmac_f64_e32 v[20:21], -0.5, v[32:33]
	v_add_f64 v[32:33], v[172:173], -v[176:177]
	v_fma_f64 v[56:57], s[4:5], v[32:33], v[20:21]
	v_fmac_f64_e32 v[20:21], s[10:11], v[32:33]
	v_add_f64 v[32:33], v[22:23], v[172:173]
	v_add_f64 v[62:63], v[32:33], v[176:177]
	;; [unrolled: 1-line block ×3, first 2 shown]
	v_fmac_f64_e32 v[22:23], -0.5, v[32:33]
	ds_read_b128 v[32:35], v135
	v_fmac_f64_e32 v[190:191], v[40:41], v[36:37]
	v_add_f64 v[36:37], v[170:171], -v[174:175]
	v_fma_f64 v[58:59], s[10:11], v[36:37], v[22:23]
	v_fmac_f64_e32 v[22:23], s[4:5], v[36:37]
	ds_read_b128 v[36:39], v137
	s_waitcnt lgkmcnt(1)
	v_add_f64 v[40:41], v[32:33], v[178:179]
	v_add_f64 v[52:53], v[40:41], v[182:183]
	;; [unrolled: 1-line block ×3, first 2 shown]
	s_waitcnt lgkmcnt(0)
	s_barrier
	ds_write_b128 v150, v[116:119]
	ds_write_b128 v150, v[108:111] offset:4320
	ds_write_b128 v150, v[12:15] offset:8640
	;; [unrolled: 1-line block ×8, first 2 shown]
	v_mov_b32_e32 v4, 0x32a0
	v_add_f64 v[44:45], v[178:179], v[182:183]
	v_add_f64 v[54:55], v[40:41], v[184:185]
	;; [unrolled: 1-line block ×3, first 2 shown]
	v_cndmask_b32_e32 v4, 0, v4, vcc
	v_lshlrev_b32_e32 v5, 4, v144
	v_fmac_f64_e32 v[32:33], -0.5, v[44:45]
	v_add_f64 v[46:47], v[180:181], -v[184:185]
	v_fmac_f64_e32 v[34:35], -0.5, v[40:41]
	v_add_f64 v[40:41], v[178:179], -v[182:183]
	v_add3_u32 v4, 0, v4, v5
	v_fma_f64 v[44:45], s[4:5], v[46:47], v[32:33]
	v_fmac_f64_e32 v[32:33], s[10:11], v[46:47]
	v_fma_f64 v[46:47], s[10:11], v[40:41], v[34:35]
	v_fmac_f64_e32 v[34:35], s[4:5], v[40:41]
	v_add_f64 v[40:41], v[186:187], v[190:191]
	ds_write_b128 v4, v[92:95]
	ds_write_b128 v4, v[88:91] offset:4320
	ds_write_b128 v4, v[0:3] offset:8640
	;; [unrolled: 1-line block ×8, first 2 shown]
	v_mul_u32_u24_e32 v0, 0x32a0, v145
	v_lshlrev_b32_e32 v1, 4, v146
	v_add_f64 v[48:49], v[36:37], v[186:187]
	v_fmac_f64_e32 v[36:37], -0.5, v[40:41]
	v_add_f64 v[50:51], v[188:189], -v[42:43]
	v_add3_u32 v0, 0, v0, v1
	v_fma_f64 v[40:41], s[4:5], v[50:51], v[36:37]
	v_fmac_f64_e32 v[36:37], s[10:11], v[50:51]
	v_add_f64 v[50:51], v[38:39], v[188:189]
	ds_write_b128 v0, v[68:71]
	ds_write_b128 v0, v[64:67] offset:4320
	ds_write_b128 v0, v[28:31] offset:8640
	v_lshl_add_u32 v0, v148, 4, 0
	v_add_f64 v[50:51], v[50:51], v[42:43]
	v_add_f64 v[42:43], v[188:189], v[42:43]
	ds_write_b128 v0, v[60:63] offset:25920
	ds_write_b128 v0, v[56:59] offset:30240
	;; [unrolled: 1-line block ×3, first 2 shown]
	v_lshl_add_u32 v0, v147, 4, 0
	v_add_f64 v[48:49], v[48:49], v[190:191]
	v_fmac_f64_e32 v[38:39], -0.5, v[42:43]
	v_add_f64 v[152:153], v[186:187], -v[190:191]
	ds_write_b128 v0, v[52:55] offset:25920
	ds_write_b128 v0, v[44:47] offset:30240
	;; [unrolled: 1-line block ×3, first 2 shown]
	v_lshl_add_u32 v0, v149, 4, 0
	v_fma_f64 v[42:43], s[10:11], v[152:153], v[38:39]
	v_fmac_f64_e32 v[38:39], s[4:5], v[152:153]
	ds_write_b128 v0, v[48:51] offset:25920
	ds_write_b128 v0, v[40:43] offset:30240
	;; [unrolled: 1-line block ×3, first 2 shown]
	v_add_co_u32_e32 v0, vcc, s24, v138
	s_waitcnt lgkmcnt(0)
	s_nop 0
	v_addc_co_u32_e32 v1, vcc, 0, v139, vcc
	s_barrier
	global_load_dwordx4 v[84:87], v[0:1], off offset:512
	v_lshl_add_u64 v[0:1], v[138:139], 0, s[12:13]
	global_load_dwordx4 v[72:75], v[0:1], off offset:16
	v_add_co_u32_e32 v48, vcc, s24, v140
	v_lshl_add_u64 v[60:61], v[140:141], 0, s[12:13]
	s_nop 0
	v_addc_co_u32_e32 v49, vcc, 0, v141, vcc
	v_add_co_u32_e32 v80, vcc, s24, v142
	ds_read_b128 v[20:23], v150
	ds_read_b128 v[16:19], v150 offset:1296
	ds_read_b128 v[88:91], v150 offset:12960
	;; [unrolled: 1-line block ×11, first 2 shown]
	ds_read_b128 v[4:7], v129
	ds_read_b128 v[0:3], v123
	v_addc_co_u32_e32 v81, vcc, 0, v143, vcc
	global_load_dwordx4 v[56:59], v[48:49], off offset:512
	ds_read_b128 v[52:55], v150 offset:18144
	ds_read_b128 v[48:51], v150 offset:19440
	global_load_dwordx4 v[60:63], v[60:61], off offset:16
	v_lshl_add_u64 v[82:83], v[142:143], 0, s[12:13]
	global_load_dwordx4 v[64:67], v[80:81], off offset:512
	global_load_dwordx4 v[68:71], v[82:83], off offset:16
	v_lshlrev_b32_e32 v80, 1, v151
	v_mov_b32_e32 v81, v127
	v_lshl_add_u64 v[92:93], v[126:127], 4, s[8:9]
	v_lshlrev_b32_e32 v126, 1, v128
	v_lshl_add_u64 v[102:103], v[126:127], 4, s[8:9]
	v_lshlrev_b32_e32 v126, 1, v132
	v_lshl_add_u64 v[114:115], v[126:127], 4, s[8:9]
	v_lshl_add_u64 v[106:107], v[102:103], 0, s[12:13]
	v_lshlrev_b32_e32 v126, 1, v130
	s_waitcnt vmcnt(5) lgkmcnt(13)
	v_mul_f64 v[96:97], v[90:91], v[86:87]
	v_fmac_f64_e32 v[96:97], v[88:89], v[84:85]
	v_mul_f64 v[86:87], v[88:89], v[86:87]
	v_lshl_add_u64 v[88:89], v[80:81], 4, s[8:9]
	v_add_co_u32_e32 v80, vcc, s24, v88
	v_fma_f64 v[100:101], v[90:91], v[84:85], -v[86:87]
	s_nop 0
	v_addc_co_u32_e32 v81, vcc, 0, v89, vcc
	global_load_dwordx4 v[80:83], v[80:81], off offset:512
	v_lshl_add_u64 v[84:85], v[88:89], 0, s[12:13]
	global_load_dwordx4 v[84:87], v[84:85], off offset:16
	v_add_co_u32_e32 v88, vcc, s24, v92
	s_waitcnt vmcnt(6) lgkmcnt(11)
	v_mul_f64 v[98:99], v[78:79], v[74:75]
	v_addc_co_u32_e32 v89, vcc, 0, v93, vcc
	global_load_dwordx4 v[88:91], v[88:89], off offset:512
	v_lshl_add_u64 v[92:93], v[92:93], 0, s[12:13]
	global_load_dwordx4 v[92:95], v[92:93], off offset:16
	v_add_co_u32_e32 v104, vcc, s24, v102
	v_mul_f64 v[74:75], v[76:77], v[74:75]
	s_nop 0
	v_addc_co_u32_e32 v105, vcc, 0, v103, vcc
	v_add_co_u32_e32 v110, vcc, s24, v114
	global_load_dwordx4 v[102:105], v[104:105], off offset:512
	s_nop 0
	global_load_dwordx4 v[106:109], v[106:107], off offset:16
	v_addc_co_u32_e32 v111, vcc, 0, v115, vcc
	v_fmac_f64_e32 v[98:99], v[76:77], v[72:73]
	global_load_dwordx4 v[110:113], v[110:111], off offset:512
	v_fma_f64 v[72:73], v[78:79], v[72:73], -v[74:75]
	v_lshl_add_u64 v[74:75], v[114:115], 0, s[12:13]
	global_load_dwordx4 v[74:77], v[74:75], off offset:16
	v_lshl_add_u64 v[78:79], v[126:127], 4, s[8:9]
	v_lshl_add_u64 v[118:119], v[78:79], 0, s[12:13]
	v_add_co_u32_e32 v78, vcc, s24, v78
	v_lshlrev_b32_e32 v126, 1, v136
	s_nop 0
	v_addc_co_u32_e32 v79, vcc, 0, v79, vcc
	global_load_dwordx4 v[114:117], v[78:79], off offset:512
	global_load_dwordx4 v[138:141], v[118:119], off offset:16
	v_lshl_add_u64 v[78:79], v[126:127], 4, s[8:9]
	v_lshl_add_u64 v[118:119], v[78:79], 0, s[12:13]
	v_add_co_u32_e32 v78, vcc, s24, v78
	v_lshlrev_b32_e32 v126, 1, v134
	s_nop 0
	v_addc_co_u32_e32 v79, vcc, 0, v79, vcc
	global_load_dwordx4 v[142:145], v[78:79], off offset:512
	global_load_dwordx4 v[146:149], v[118:119], off offset:16
	v_lshl_add_u64 v[78:79], v[126:127], 4, s[8:9]
	v_add_co_u32_e32 v118, vcc, s24, v78
	s_waitcnt vmcnt(14) lgkmcnt(10)
	v_mul_f64 v[162:163], v[38:39], v[62:63]
	v_addc_co_u32_e32 v119, vcc, 0, v79, vcc
	global_load_dwordx4 v[152:155], v[118:119], off offset:512
	v_lshl_add_u64 v[78:79], v[78:79], 0, s[12:13]
	global_load_dwordx4 v[156:159], v[78:79], off offset:16
	v_mul_f64 v[160:161], v[46:47], v[58:59]
	v_fmac_f64_e32 v[162:163], v[36:37], v[60:61]
	v_mul_f64 v[36:37], v[36:37], v[62:63]
	v_fmac_f64_e32 v[160:161], v[44:45], v[56:57]
	v_mul_f64 v[44:45], v[44:45], v[58:59]
	v_fma_f64 v[164:165], v[38:39], v[60:61], -v[36:37]
	s_waitcnt vmcnt(15) lgkmcnt(7)
	v_mul_f64 v[166:167], v[42:43], v[66:67]
	v_mul_f64 v[36:37], v[40:41], v[66:67]
	s_waitcnt vmcnt(14) lgkmcnt(5)
	v_mul_f64 v[66:67], v[34:35], v[70:71]
	v_fma_f64 v[78:79], v[46:47], v[56:57], -v[44:45]
	ds_read_b128 v[44:47], v150 offset:31104
	ds_read_b128 v[56:59], v150 offset:32400
	v_fmac_f64_e32 v[66:67], v[32:33], v[68:69]
	v_mul_f64 v[32:33], v[32:33], v[70:71]
	v_fmac_f64_e32 v[166:167], v[40:41], v[64:65]
	v_fma_f64 v[64:65], v[42:43], v[64:65], -v[36:37]
	v_fma_f64 v[68:69], v[34:35], v[68:69], -v[32:33]
	s_waitcnt vmcnt(13)
	v_mul_f64 v[70:71], v[26:27], v[82:83]
	v_fmac_f64_e32 v[70:71], v[24:25], v[80:81]
	v_mul_f64 v[24:25], v[24:25], v[82:83]
	s_waitcnt vmcnt(12) lgkmcnt(6)
	v_mul_f64 v[82:83], v[30:31], v[86:87]
	v_fmac_f64_e32 v[82:83], v[28:29], v[84:85]
	v_mul_f64 v[28:29], v[28:29], v[86:87]
	v_fma_f64 v[80:81], v[26:27], v[80:81], -v[24:25]
	ds_read_b128 v[32:35], v131
	ds_read_b128 v[24:27], v133
	v_fma_f64 v[84:85], v[30:31], v[84:85], -v[28:29]
	ds_read_b128 v[28:31], v150 offset:20736
	ds_read_b128 v[40:43], v150 offset:22032
	s_waitcnt vmcnt(11) lgkmcnt(7)
	v_mul_f64 v[168:169], v[54:55], v[90:91]
	v_mul_f64 v[36:37], v[52:53], v[90:91]
	v_fmac_f64_e32 v[168:169], v[52:53], v[88:89]
	v_fma_f64 v[170:171], v[54:55], v[88:89], -v[36:37]
	ds_read_b128 v[52:55], v150 offset:33696
	ds_read_b128 v[60:63], v150 offset:34992
	s_waitcnt vmcnt(10) lgkmcnt(7)
	v_mul_f64 v[36:37], v[44:45], v[94:95]
	v_fma_f64 v[174:175], v[46:47], v[92:93], -v[36:37]
	s_waitcnt vmcnt(9)
	v_mul_f64 v[36:37], v[48:49], v[104:105]
	v_fma_f64 v[178:179], v[50:51], v[102:103], -v[36:37]
	s_waitcnt vmcnt(8) lgkmcnt(6)
	v_mul_f64 v[180:181], v[58:59], v[108:109]
	v_mul_f64 v[36:37], v[56:57], v[108:109]
	;; [unrolled: 1-line block ×3, first 2 shown]
	v_fmac_f64_e32 v[180:181], v[56:57], v[106:107]
	v_fma_f64 v[56:57], v[58:59], v[106:107], -v[36:37]
	s_waitcnt vmcnt(7) lgkmcnt(3)
	v_mul_f64 v[58:59], v[30:31], v[112:113]
	v_fmac_f64_e32 v[172:173], v[44:45], v[92:93]
	v_mul_f64 v[176:177], v[50:51], v[104:105]
	v_fmac_f64_e32 v[58:59], v[28:29], v[110:111]
	v_mul_f64 v[28:29], v[28:29], v[112:113]
	s_waitcnt vmcnt(6) lgkmcnt(1)
	v_mul_f64 v[44:45], v[52:53], v[76:77]
	v_fmac_f64_e32 v[176:177], v[48:49], v[102:103]
	v_fma_f64 v[182:183], v[30:31], v[110:111], -v[28:29]
	ds_read_b128 v[36:39], v135
	ds_read_b128 v[28:31], v137
	v_fma_f64 v[186:187], v[54:55], v[74:75], -v[44:45]
	ds_read_b128 v[44:47], v150 offset:23328
	ds_read_b128 v[48:51], v150 offset:24624
	s_waitcnt vmcnt(5)
	v_mul_f64 v[188:189], v[42:43], v[116:117]
	v_mul_f64 v[184:185], v[54:55], v[76:77]
	v_fmac_f64_e32 v[188:189], v[40:41], v[114:115]
	v_mul_f64 v[40:41], v[40:41], v[116:117]
	v_fmac_f64_e32 v[184:185], v[52:53], v[74:75]
	v_fma_f64 v[190:191], v[42:43], v[114:115], -v[40:41]
	ds_read_b128 v[40:43], v150 offset:36288
	ds_read_b128 v[52:55], v150 offset:37584
	s_waitcnt vmcnt(4) lgkmcnt(6)
	v_mul_f64 v[192:193], v[62:63], v[140:141]
	v_fmac_f64_e32 v[192:193], v[60:61], v[138:139]
	v_mul_f64 v[60:61], v[60:61], v[140:141]
	s_waitcnt vmcnt(3) lgkmcnt(3)
	v_mul_f64 v[140:141], v[46:47], v[144:145]
	v_fmac_f64_e32 v[140:141], v[44:45], v[142:143]
	v_mul_f64 v[44:45], v[44:45], v[144:145]
	v_fma_f64 v[44:45], v[46:47], v[142:143], -v[44:45]
	s_waitcnt vmcnt(2) lgkmcnt(1)
	v_mul_f64 v[46:47], v[42:43], v[148:149]
	v_fmac_f64_e32 v[46:47], v[40:41], v[146:147]
	v_mul_f64 v[40:41], v[40:41], v[148:149]
	v_fma_f64 v[40:41], v[42:43], v[146:147], -v[40:41]
	s_waitcnt vmcnt(1)
	v_mul_f64 v[42:43], v[50:51], v[154:155]
	v_fmac_f64_e32 v[42:43], v[48:49], v[152:153]
	v_mul_f64 v[48:49], v[48:49], v[154:155]
	v_fma_f64 v[142:143], v[50:51], v[152:153], -v[48:49]
	s_waitcnt vmcnt(0) lgkmcnt(0)
	v_mul_f64 v[48:49], v[52:53], v[158:159]
	v_fma_f64 v[146:147], v[54:55], v[156:157], -v[48:49]
	v_add_f64 v[48:49], v[20:21], v[96:97]
	v_add_f64 v[116:117], v[48:49], v[98:99]
	v_add_f64 v[48:49], v[96:97], v[98:99]
	v_fmac_f64_e32 v[20:21], -0.5, v[48:49]
	v_add_f64 v[48:49], v[100:101], -v[72:73]
	v_fma_f64 v[108:109], s[4:5], v[48:49], v[20:21]
	v_fmac_f64_e32 v[20:21], s[10:11], v[48:49]
	v_add_f64 v[48:49], v[22:23], v[100:101]
	v_add_f64 v[118:119], v[48:49], v[72:73]
	v_add_f64 v[48:49], v[100:101], v[72:73]
	v_fmac_f64_e32 v[22:23], -0.5, v[48:49]
	v_add_f64 v[48:49], v[96:97], -v[98:99]
	v_fma_f64 v[110:111], s[10:11], v[48:49], v[22:23]
	v_fmac_f64_e32 v[22:23], s[4:5], v[48:49]
	;; [unrolled: 7-line block ×14, first 2 shown]
	v_add_f64 v[48:49], v[24:25], v[188:189]
	v_fma_f64 v[138:139], v[62:63], v[138:139], -v[60:61]
	v_add_f64 v[60:61], v[48:49], v[192:193]
	v_add_f64 v[48:49], v[188:189], v[192:193]
	v_fmac_f64_e32 v[24:25], -0.5, v[48:49]
	v_add_f64 v[48:49], v[190:191], -v[138:139]
	v_fma_f64 v[56:57], s[4:5], v[48:49], v[24:25]
	v_fmac_f64_e32 v[24:25], s[10:11], v[48:49]
	v_add_f64 v[48:49], v[26:27], v[190:191]
	v_add_f64 v[62:63], v[48:49], v[138:139]
	v_add_f64 v[48:49], v[190:191], v[138:139]
	v_fmac_f64_e32 v[26:27], -0.5, v[48:49]
	v_add_f64 v[48:49], v[188:189], -v[192:193]
	v_mul_f64 v[144:145], v[54:55], v[158:159]
	v_fma_f64 v[58:59], s[10:11], v[48:49], v[26:27]
	v_fmac_f64_e32 v[26:27], s[4:5], v[48:49]
	v_add_f64 v[48:49], v[36:37], v[140:141]
	v_fmac_f64_e32 v[144:145], v[52:53], v[156:157]
	v_add_f64 v[52:53], v[48:49], v[46:47]
	v_add_f64 v[48:49], v[140:141], v[46:47]
	v_fmac_f64_e32 v[36:37], -0.5, v[48:49]
	v_add_f64 v[50:51], v[44:45], -v[40:41]
	v_fma_f64 v[48:49], s[4:5], v[50:51], v[36:37]
	v_fmac_f64_e32 v[36:37], s[10:11], v[50:51]
	v_add_f64 v[50:51], v[38:39], v[44:45]
	v_add_f64 v[54:55], v[50:51], v[40:41]
	;; [unrolled: 1-line block ×3, first 2 shown]
	v_fmac_f64_e32 v[38:39], -0.5, v[40:41]
	v_add_f64 v[40:41], v[140:141], -v[46:47]
	v_fma_f64 v[50:51], s[10:11], v[40:41], v[38:39]
	v_fmac_f64_e32 v[38:39], s[4:5], v[40:41]
	v_add_f64 v[40:41], v[28:29], v[42:43]
	v_add_f64 v[44:45], v[40:41], v[144:145]
	;; [unrolled: 1-line block ×3, first 2 shown]
	v_fmac_f64_e32 v[28:29], -0.5, v[40:41]
	v_add_f64 v[46:47], v[142:143], -v[146:147]
	v_add_f64 v[138:139], v[142:143], v[146:147]
	v_fma_f64 v[40:41], s[4:5], v[46:47], v[28:29]
	v_fmac_f64_e32 v[28:29], s[10:11], v[46:47]
	v_add_f64 v[46:47], v[30:31], v[142:143]
	v_fmac_f64_e32 v[30:31], -0.5, v[138:139]
	v_add_f64 v[138:139], v[42:43], -v[144:145]
	v_add_f64 v[46:47], v[46:47], v[146:147]
	v_fma_f64 v[42:43], s[10:11], v[138:139], v[30:31]
	v_fmac_f64_e32 v[30:31], s[4:5], v[138:139]
	s_barrier
	ds_write_b128 v150, v[116:119]
	ds_write_b128 v150, v[108:111] offset:12960
	ds_write_b128 v150, v[20:23] offset:25920
	;; [unrolled: 1-line block ×11, first 2 shown]
	ds_write_b128 v129, v[84:87]
	ds_write_b128 v129, v[80:83] offset:12960
	ds_write_b128 v129, v[4:7] offset:25920
	ds_write_b128 v123, v[76:79]
	ds_write_b128 v123, v[72:75] offset:12960
	ds_write_b128 v123, v[0:3] offset:25920
	ds_write_b128 v131, v[68:71]
	ds_write_b128 v131, v[64:67] offset:12960
	ds_write_b128 v131, v[32:35] offset:25920
	ds_write_b128 v133, v[60:63]
	ds_write_b128 v133, v[56:59] offset:12960
	ds_write_b128 v133, v[24:27] offset:25920
	ds_write_b128 v135, v[52:55]
	ds_write_b128 v135, v[48:51] offset:12960
	ds_write_b128 v135, v[36:39] offset:25920
	ds_write_b128 v137, v[44:47]
	ds_write_b128 v137, v[40:43] offset:12960
	ds_write_b128 v137, v[28:31] offset:25920
	s_waitcnt lgkmcnt(0)
	s_barrier
	s_and_saveexec_b64 s[4:5], s[0:1]
	s_cbranch_execz .LBB0_21
; %bb.20:
	v_mul_lo_u32 v0, s3, v124
	v_mul_lo_u32 v1, s2, v125
	v_mad_u64_u32 v[4:5], s[0:1], s2, v124, 0
	v_add3_u32 v5, v5, v1, v0
	v_lshl_add_u32 v12, v122, 4, 0
	ds_read_b128 v[0:3], v12
	v_lshl_add_u64 v[4:5], v[4:5], 4, s[6:7]
	v_lshl_add_u64 v[8:9], v[120:121], 4, v[4:5]
	ds_read_b128 v[4:7], v12 offset:1296
	v_mov_b32_e32 v123, v127
	v_lshl_add_u64 v[10:11], v[122:123], 4, v[8:9]
	v_add_u32_e32 v126, 0x51, v122
	s_waitcnt lgkmcnt(1)
	global_store_dwordx4 v[10:11], v[0:3], off
	v_lshl_add_u64 v[10:11], v[126:127], 4, v[8:9]
	ds_read_b128 v[0:3], v12 offset:2592
	s_waitcnt lgkmcnt(1)
	global_store_dwordx4 v[10:11], v[4:7], off
	ds_read_b128 v[4:7], v12 offset:3888
	v_add_u32_e32 v126, 0xa2, v122
	v_lshl_add_u64 v[10:11], v[126:127], 4, v[8:9]
	v_add_u32_e32 v126, 0xf3, v122
	s_waitcnt lgkmcnt(1)
	global_store_dwordx4 v[10:11], v[0:3], off
	v_lshl_add_u64 v[10:11], v[126:127], 4, v[8:9]
	ds_read_b128 v[0:3], v12 offset:5184
	s_waitcnt lgkmcnt(1)
	global_store_dwordx4 v[10:11], v[4:7], off
	ds_read_b128 v[4:7], v12 offset:6480
	v_add_u32_e32 v126, 0x144, v122
	;; [unrolled: 10-line block ×14, first 2 shown]
	v_lshl_add_u64 v[10:11], v[126:127], 4, v[8:9]
	v_add_u32_e32 v126, 0x92d, v122
	s_waitcnt lgkmcnt(1)
	global_store_dwordx4 v[10:11], v[0:3], off
	s_nop 1
	v_lshl_add_u64 v[0:1], v[126:127], 4, v[8:9]
	s_waitcnt lgkmcnt(0)
	global_store_dwordx4 v[0:1], v[4:7], off
.LBB0_21:
	s_endpgm
	.section	.rodata,"a",@progbits
	.p2align	6, 0x0
	.amdhsa_kernel fft_rtc_back_len2430_factors_10_3_3_3_3_3_wgs_81_tpt_81_halfLds_dp_op_CI_CI_unitstride_sbrr_C2R_dirReg
		.amdhsa_group_segment_fixed_size 0
		.amdhsa_private_segment_fixed_size 0
		.amdhsa_kernarg_size 104
		.amdhsa_user_sgpr_count 2
		.amdhsa_user_sgpr_dispatch_ptr 0
		.amdhsa_user_sgpr_queue_ptr 0
		.amdhsa_user_sgpr_kernarg_segment_ptr 1
		.amdhsa_user_sgpr_dispatch_id 0
		.amdhsa_user_sgpr_kernarg_preload_length 0
		.amdhsa_user_sgpr_kernarg_preload_offset 0
		.amdhsa_user_sgpr_private_segment_size 0
		.amdhsa_uses_dynamic_stack 0
		.amdhsa_enable_private_segment 0
		.amdhsa_system_sgpr_workgroup_id_x 1
		.amdhsa_system_sgpr_workgroup_id_y 0
		.amdhsa_system_sgpr_workgroup_id_z 0
		.amdhsa_system_sgpr_workgroup_info 0
		.amdhsa_system_vgpr_workitem_id 0
		.amdhsa_next_free_vgpr 194
		.amdhsa_next_free_sgpr 28
		.amdhsa_accum_offset 196
		.amdhsa_reserve_vcc 1
		.amdhsa_float_round_mode_32 0
		.amdhsa_float_round_mode_16_64 0
		.amdhsa_float_denorm_mode_32 3
		.amdhsa_float_denorm_mode_16_64 3
		.amdhsa_dx10_clamp 1
		.amdhsa_ieee_mode 1
		.amdhsa_fp16_overflow 0
		.amdhsa_tg_split 0
		.amdhsa_exception_fp_ieee_invalid_op 0
		.amdhsa_exception_fp_denorm_src 0
		.amdhsa_exception_fp_ieee_div_zero 0
		.amdhsa_exception_fp_ieee_overflow 0
		.amdhsa_exception_fp_ieee_underflow 0
		.amdhsa_exception_fp_ieee_inexact 0
		.amdhsa_exception_int_div_zero 0
	.end_amdhsa_kernel
	.text
.Lfunc_end0:
	.size	fft_rtc_back_len2430_factors_10_3_3_3_3_3_wgs_81_tpt_81_halfLds_dp_op_CI_CI_unitstride_sbrr_C2R_dirReg, .Lfunc_end0-fft_rtc_back_len2430_factors_10_3_3_3_3_3_wgs_81_tpt_81_halfLds_dp_op_CI_CI_unitstride_sbrr_C2R_dirReg
                                        ; -- End function
	.section	.AMDGPU.csdata,"",@progbits
; Kernel info:
; codeLenInByte = 22908
; NumSgprs: 34
; NumVgprs: 194
; NumAgprs: 0
; TotalNumVgprs: 194
; ScratchSize: 0
; MemoryBound: 0
; FloatMode: 240
; IeeeMode: 1
; LDSByteSize: 0 bytes/workgroup (compile time only)
; SGPRBlocks: 4
; VGPRBlocks: 24
; NumSGPRsForWavesPerEU: 34
; NumVGPRsForWavesPerEU: 194
; AccumOffset: 196
; Occupancy: 2
; WaveLimiterHint : 1
; COMPUTE_PGM_RSRC2:SCRATCH_EN: 0
; COMPUTE_PGM_RSRC2:USER_SGPR: 2
; COMPUTE_PGM_RSRC2:TRAP_HANDLER: 0
; COMPUTE_PGM_RSRC2:TGID_X_EN: 1
; COMPUTE_PGM_RSRC2:TGID_Y_EN: 0
; COMPUTE_PGM_RSRC2:TGID_Z_EN: 0
; COMPUTE_PGM_RSRC2:TIDIG_COMP_CNT: 0
; COMPUTE_PGM_RSRC3_GFX90A:ACCUM_OFFSET: 48
; COMPUTE_PGM_RSRC3_GFX90A:TG_SPLIT: 0
	.text
	.p2alignl 6, 3212836864
	.fill 256, 4, 3212836864
	.type	__hip_cuid_bb6941a64096fd63,@object ; @__hip_cuid_bb6941a64096fd63
	.section	.bss,"aw",@nobits
	.globl	__hip_cuid_bb6941a64096fd63
__hip_cuid_bb6941a64096fd63:
	.byte	0                               ; 0x0
	.size	__hip_cuid_bb6941a64096fd63, 1

	.ident	"AMD clang version 19.0.0git (https://github.com/RadeonOpenCompute/llvm-project roc-6.4.0 25133 c7fe45cf4b819c5991fe208aaa96edf142730f1d)"
	.section	".note.GNU-stack","",@progbits
	.addrsig
	.addrsig_sym __hip_cuid_bb6941a64096fd63
	.amdgpu_metadata
---
amdhsa.kernels:
  - .agpr_count:     0
    .args:
      - .actual_access:  read_only
        .address_space:  global
        .offset:         0
        .size:           8
        .value_kind:     global_buffer
      - .offset:         8
        .size:           8
        .value_kind:     by_value
      - .actual_access:  read_only
        .address_space:  global
        .offset:         16
        .size:           8
        .value_kind:     global_buffer
      - .actual_access:  read_only
        .address_space:  global
        .offset:         24
        .size:           8
        .value_kind:     global_buffer
      - .actual_access:  read_only
        .address_space:  global
        .offset:         32
        .size:           8
        .value_kind:     global_buffer
      - .offset:         40
        .size:           8
        .value_kind:     by_value
      - .actual_access:  read_only
        .address_space:  global
        .offset:         48
        .size:           8
        .value_kind:     global_buffer
      - .actual_access:  read_only
        .address_space:  global
        .offset:         56
        .size:           8
        .value_kind:     global_buffer
      - .offset:         64
        .size:           4
        .value_kind:     by_value
      - .actual_access:  read_only
        .address_space:  global
        .offset:         72
        .size:           8
        .value_kind:     global_buffer
      - .actual_access:  read_only
        .address_space:  global
        .offset:         80
        .size:           8
        .value_kind:     global_buffer
      - .actual_access:  read_only
        .address_space:  global
        .offset:         88
        .size:           8
        .value_kind:     global_buffer
      - .actual_access:  write_only
        .address_space:  global
        .offset:         96
        .size:           8
        .value_kind:     global_buffer
    .group_segment_fixed_size: 0
    .kernarg_segment_align: 8
    .kernarg_segment_size: 104
    .language:       OpenCL C
    .language_version:
      - 2
      - 0
    .max_flat_workgroup_size: 81
    .name:           fft_rtc_back_len2430_factors_10_3_3_3_3_3_wgs_81_tpt_81_halfLds_dp_op_CI_CI_unitstride_sbrr_C2R_dirReg
    .private_segment_fixed_size: 0
    .sgpr_count:     34
    .sgpr_spill_count: 0
    .symbol:         fft_rtc_back_len2430_factors_10_3_3_3_3_3_wgs_81_tpt_81_halfLds_dp_op_CI_CI_unitstride_sbrr_C2R_dirReg.kd
    .uniform_work_group_size: 1
    .uses_dynamic_stack: false
    .vgpr_count:     194
    .vgpr_spill_count: 0
    .wavefront_size: 64
amdhsa.target:   amdgcn-amd-amdhsa--gfx950
amdhsa.version:
  - 1
  - 2
...

	.end_amdgpu_metadata
